;; amdgpu-corpus repo=ggml-org/llama.cpp kind=compiled arch=gfx1100 opt=O3
	.text
	.amdgcn_target "amdgcn-amd-amdhsa--gfx1100"
	.amdhsa_code_object_version 6
	.section	.text._Z18ssm_scan_f32_groupILi4ELi128EEvPKfS1_S1_S1_S1_S1_PKiPfiiiiiiiiiiilllll,"axG",@progbits,_Z18ssm_scan_f32_groupILi4ELi128EEvPKfS1_S1_S1_S1_S1_PKiPfiiiiiiiiiiilllll,comdat
	.protected	_Z18ssm_scan_f32_groupILi4ELi128EEvPKfS1_S1_S1_S1_S1_PKiPfiiiiiiiiiiilllll ; -- Begin function _Z18ssm_scan_f32_groupILi4ELi128EEvPKfS1_S1_S1_S1_S1_PKiPfiiiiiiiiiiilllll
	.globl	_Z18ssm_scan_f32_groupILi4ELi128EEvPKfS1_S1_S1_S1_S1_PKiPfiiiiiiiiiiilllll
	.p2align	8
	.type	_Z18ssm_scan_f32_groupILi4ELi128EEvPKfS1_S1_S1_S1_S1_PKiPfiiiiiiiiiiilllll,@function
_Z18ssm_scan_f32_groupILi4ELi128EEvPKfS1_S1_S1_S1_S1_PKiPfiiiiiiiiiiilllll: ; @_Z18ssm_scan_f32_groupILi4ELi128EEvPKfS1_S1_S1_S1_S1_PKiPfiiiiiiiiiiilllll
; %bb.0:
	s_load_b256 s[20:27], s[0:1], 0x70
	v_lshrrev_b32_e32 v1, 5, v0
	s_load_b64 s[44:45], s[0:1], 0x90
	v_mov_b32_e32 v3, 0
	s_mov_b32 s34, s15
	s_delay_alu instid0(VALU_DEP_2) | instskip(NEXT) | instid1(VALU_DEP_1)
	v_lshl_or_b32 v1, s14, 2, v1
	v_ashrrev_i32_e32 v2, 31, v1
	s_waitcnt lgkmcnt(0)
	s_delay_alu instid0(VALU_DEP_1) | instskip(NEXT) | instid1(VALU_DEP_1)
	v_or_b32_e32 v4, s25, v2
	v_cmp_ne_u64_e32 vcc_lo, 0, v[3:4]
                                        ; implicit-def: $vgpr3_vgpr4
	s_and_saveexec_b32 s2, vcc_lo
	s_delay_alu instid0(SALU_CYCLE_1)
	s_xor_b32 s3, exec_lo, s2
	s_cbranch_execz .LBB0_2
; %bb.1:
	s_ashr_i32 s4, s25, 31
	s_delay_alu instid0(SALU_CYCLE_1) | instskip(SKIP_2) | instid1(SALU_CYCLE_1)
	s_add_u32 s6, s24, s4
	s_mov_b32 s5, s4
	s_addc_u32 s7, s25, s4
	s_xor_b64 s[6:7], s[6:7], s[4:5]
	s_delay_alu instid0(SALU_CYCLE_1) | instskip(SKIP_3) | instid1(VALU_DEP_1)
	v_cvt_f32_u32_e32 v3, s6
	v_cvt_f32_u32_e32 v4, s7
	s_sub_u32 s2, 0, s6
	s_subb_u32 s5, 0, s7
	v_fmamk_f32 v3, v4, 0x4f800000, v3
	s_delay_alu instid0(VALU_DEP_1) | instskip(SKIP_2) | instid1(VALU_DEP_1)
	v_rcp_f32_e32 v3, v3
	s_waitcnt_depctr 0xfff
	v_mul_f32_e32 v3, 0x5f7ffffc, v3
	v_mul_f32_e32 v4, 0x2f800000, v3
	s_delay_alu instid0(VALU_DEP_1) | instskip(NEXT) | instid1(VALU_DEP_1)
	v_trunc_f32_e32 v4, v4
	v_fmamk_f32 v3, v4, 0xcf800000, v3
	v_cvt_u32_f32_e32 v4, v4
	s_delay_alu instid0(VALU_DEP_2) | instskip(NEXT) | instid1(VALU_DEP_2)
	v_cvt_u32_f32_e32 v3, v3
	v_mul_lo_u32 v5, s2, v4
	s_delay_alu instid0(VALU_DEP_2) | instskip(SKIP_1) | instid1(VALU_DEP_2)
	v_mul_hi_u32 v6, s2, v3
	v_mul_lo_u32 v7, s5, v3
	v_add_nc_u32_e32 v5, v6, v5
	v_mul_lo_u32 v6, s2, v3
	s_delay_alu instid0(VALU_DEP_2) | instskip(NEXT) | instid1(VALU_DEP_2)
	v_add_nc_u32_e32 v5, v5, v7
	v_mul_hi_u32 v7, v3, v6
	s_delay_alu instid0(VALU_DEP_2)
	v_mul_lo_u32 v8, v3, v5
	v_mul_hi_u32 v9, v3, v5
	v_mul_hi_u32 v10, v4, v6
	v_mul_lo_u32 v6, v4, v6
	v_mul_hi_u32 v11, v4, v5
	v_mul_lo_u32 v5, v4, v5
	v_add_co_u32 v7, vcc_lo, v7, v8
	v_add_co_ci_u32_e32 v8, vcc_lo, 0, v9, vcc_lo
	v_mov_b32_e32 v9, v2
	s_delay_alu instid0(VALU_DEP_3) | instskip(NEXT) | instid1(VALU_DEP_3)
	v_add_co_u32 v6, vcc_lo, v7, v6
	v_add_co_ci_u32_e32 v6, vcc_lo, v8, v10, vcc_lo
	v_add_co_ci_u32_e32 v7, vcc_lo, 0, v11, vcc_lo
	v_mov_b32_e32 v11, v2
	s_delay_alu instid0(VALU_DEP_3) | instskip(NEXT) | instid1(VALU_DEP_3)
	v_add_co_u32 v5, vcc_lo, v6, v5
	v_add_co_ci_u32_e32 v6, vcc_lo, 0, v7, vcc_lo
	s_delay_alu instid0(VALU_DEP_2) | instskip(NEXT) | instid1(VALU_DEP_2)
	v_add_co_u32 v3, vcc_lo, v3, v5
	v_add_co_ci_u32_e32 v4, vcc_lo, v4, v6, vcc_lo
	s_delay_alu instid0(VALU_DEP_2) | instskip(SKIP_1) | instid1(VALU_DEP_3)
	v_mul_hi_u32 v5, s2, v3
	v_mul_lo_u32 v7, s5, v3
	v_mul_lo_u32 v6, s2, v4
	s_delay_alu instid0(VALU_DEP_1) | instskip(SKIP_1) | instid1(VALU_DEP_2)
	v_add_nc_u32_e32 v5, v5, v6
	v_mul_lo_u32 v6, s2, v3
	v_add_nc_u32_e32 v5, v5, v7
	s_delay_alu instid0(VALU_DEP_2) | instskip(NEXT) | instid1(VALU_DEP_2)
	v_mul_hi_u32 v7, v3, v6
	v_mul_lo_u32 v8, v3, v5
	v_mul_hi_u32 v10, v3, v5
	v_mul_hi_u32 v12, v4, v6
	v_mul_lo_u32 v6, v4, v6
	v_mul_hi_u32 v13, v4, v5
	v_mul_lo_u32 v5, v4, v5
	v_add_co_u32 v7, vcc_lo, v7, v8
	v_add_co_ci_u32_e32 v8, vcc_lo, 0, v10, vcc_lo
	s_delay_alu instid0(VALU_DEP_2) | instskip(NEXT) | instid1(VALU_DEP_2)
	v_add_co_u32 v6, vcc_lo, v7, v6
	v_add_co_ci_u32_e32 v6, vcc_lo, v8, v12, vcc_lo
	v_add_co_ci_u32_e32 v7, vcc_lo, 0, v13, vcc_lo
	v_add_co_u32 v8, vcc_lo, v1, v9
	v_add_co_ci_u32_e32 v10, vcc_lo, v2, v11, vcc_lo
	s_delay_alu instid0(VALU_DEP_4) | instskip(NEXT) | instid1(VALU_DEP_4)
	v_add_co_u32 v5, vcc_lo, v6, v5
	v_add_co_ci_u32_e32 v6, vcc_lo, 0, v7, vcc_lo
	s_delay_alu instid0(VALU_DEP_4) | instskip(NEXT) | instid1(VALU_DEP_3)
	v_xor_b32_e32 v12, v8, v9
	v_add_co_u32 v7, vcc_lo, v3, v5
	s_delay_alu instid0(VALU_DEP_3) | instskip(SKIP_1) | instid1(VALU_DEP_3)
	v_add_co_ci_u32_e32 v13, vcc_lo, v4, v6, vcc_lo
	v_xor_b32_e32 v10, v10, v11
	v_mul_hi_u32 v11, v12, v7
	s_delay_alu instid0(VALU_DEP_3) | instskip(NEXT) | instid1(VALU_DEP_3)
	v_mad_u64_u32 v[3:4], null, v12, v13, 0
	v_mad_u64_u32 v[5:6], null, v10, v7, 0
	;; [unrolled: 1-line block ×3, first 2 shown]
	s_delay_alu instid0(VALU_DEP_3) | instskip(NEXT) | instid1(VALU_DEP_4)
	v_add_co_u32 v3, vcc_lo, v11, v3
	v_add_co_ci_u32_e32 v4, vcc_lo, 0, v4, vcc_lo
	s_delay_alu instid0(VALU_DEP_2) | instskip(NEXT) | instid1(VALU_DEP_2)
	v_add_co_u32 v3, vcc_lo, v3, v5
	v_add_co_ci_u32_e32 v3, vcc_lo, v4, v6, vcc_lo
	v_add_co_ci_u32_e32 v4, vcc_lo, 0, v8, vcc_lo
	s_delay_alu instid0(VALU_DEP_2) | instskip(NEXT) | instid1(VALU_DEP_2)
	v_add_co_u32 v5, vcc_lo, v3, v7
	v_add_co_ci_u32_e32 v6, vcc_lo, 0, v4, vcc_lo
	s_delay_alu instid0(VALU_DEP_2) | instskip(SKIP_1) | instid1(VALU_DEP_3)
	v_mul_lo_u32 v7, s7, v5
	v_mad_u64_u32 v[3:4], null, s6, v5, 0
	v_mul_lo_u32 v6, s6, v6
	s_delay_alu instid0(VALU_DEP_2) | instskip(NEXT) | instid1(VALU_DEP_2)
	v_sub_co_u32 v3, vcc_lo, v12, v3
	v_add3_u32 v4, v4, v6, v7
	v_add_co_u32 v7, s2, v5, 2
	s_delay_alu instid0(VALU_DEP_2) | instskip(NEXT) | instid1(VALU_DEP_1)
	v_sub_nc_u32_e32 v6, v10, v4
	v_subrev_co_ci_u32_e64 v6, s2, s7, v6, vcc_lo
	v_sub_co_u32 v8, s2, v3, s6
	v_sub_co_ci_u32_e32 v4, vcc_lo, v10, v4, vcc_lo
	s_delay_alu instid0(VALU_DEP_3) | instskip(NEXT) | instid1(VALU_DEP_3)
	v_subrev_co_ci_u32_e64 v6, s2, 0, v6, s2
	v_cmp_le_u32_e32 vcc_lo, s6, v8
	v_cndmask_b32_e64 v8, 0, -1, vcc_lo
	s_delay_alu instid0(VALU_DEP_3)
	v_cmp_le_u32_e32 vcc_lo, s7, v6
	v_cndmask_b32_e64 v10, 0, -1, vcc_lo
	v_cmp_le_u32_e32 vcc_lo, s6, v3
	v_cndmask_b32_e64 v3, 0, -1, vcc_lo
	;; [unrolled: 2-line block ×3, first 2 shown]
	v_cmp_eq_u32_e32 vcc_lo, s7, v6
	v_cndmask_b32_e32 v6, v10, v8, vcc_lo
	v_add_co_u32 v8, vcc_lo, v5, 1
	v_cmp_eq_u32_e32 vcc_lo, s7, v4
	v_cndmask_b32_e32 v3, v11, v3, vcc_lo
	s_delay_alu instid0(VALU_DEP_4) | instskip(NEXT) | instid1(VALU_DEP_4)
	v_cmp_ne_u32_e32 vcc_lo, 0, v6
	v_cndmask_b32_e32 v4, v8, v7, vcc_lo
	s_delay_alu instid0(VALU_DEP_3) | instskip(NEXT) | instid1(VALU_DEP_2)
	v_cmp_ne_u32_e32 vcc_lo, 0, v3
	v_cndmask_b32_e32 v3, v5, v4, vcc_lo
	v_xor_b32_e32 v4, s4, v9
	s_delay_alu instid0(VALU_DEP_1) | instskip(NEXT) | instid1(VALU_DEP_1)
	v_xor_b32_e32 v3, v3, v4
	v_sub_co_u32 v3, vcc_lo, v3, v4
.LBB0_2:
	s_and_not1_saveexec_b32 s2, s3
	s_cbranch_execz .LBB0_4
; %bb.3:
	v_cvt_f32_u32_e32 v3, s24
	s_sub_i32 s3, 0, s24
	s_delay_alu instid0(VALU_DEP_1) | instskip(SKIP_2) | instid1(VALU_DEP_1)
	v_rcp_iflag_f32_e32 v3, v3
	s_waitcnt_depctr 0xfff
	v_mul_f32_e32 v3, 0x4f7ffffe, v3
	v_cvt_u32_f32_e32 v3, v3
	s_delay_alu instid0(VALU_DEP_1) | instskip(NEXT) | instid1(VALU_DEP_1)
	v_mul_lo_u32 v4, s3, v3
	v_mul_hi_u32 v4, v3, v4
	s_delay_alu instid0(VALU_DEP_1) | instskip(NEXT) | instid1(VALU_DEP_1)
	v_add_nc_u32_e32 v3, v3, v4
	v_mul_hi_u32 v3, v1, v3
	s_delay_alu instid0(VALU_DEP_1) | instskip(SKIP_1) | instid1(VALU_DEP_2)
	v_mul_lo_u32 v4, v3, s24
	v_add_nc_u32_e32 v5, 1, v3
	v_sub_nc_u32_e32 v4, v1, v4
	s_delay_alu instid0(VALU_DEP_1) | instskip(SKIP_1) | instid1(VALU_DEP_2)
	v_subrev_nc_u32_e32 v6, s24, v4
	v_cmp_le_u32_e32 vcc_lo, s24, v4
	v_dual_cndmask_b32 v4, v4, v6 :: v_dual_cndmask_b32 v3, v3, v5
	s_delay_alu instid0(VALU_DEP_1) | instskip(NEXT) | instid1(VALU_DEP_2)
	v_cmp_le_u32_e32 vcc_lo, s24, v4
	v_add_nc_u32_e32 v5, 1, v3
	s_delay_alu instid0(VALU_DEP_1)
	v_cndmask_b32_e32 v3, v3, v5, vcc_lo
.LBB0_4:
	s_or_b32 exec_lo, exec_lo, s2
	s_clause 0x1
	s_load_b512 s[4:19], s[0:1], 0x0
	s_load_b256 s[36:43], s[0:1], 0x40
	s_ashr_i32 s35, s34, 31
	v_mul_lo_u32 v4, v3, s24
	s_lshl_b64 s[2:3], s[34:35], 2
	v_and_b32_e32 v17, 31, v0
	s_delay_alu instid0(VALU_DEP_1) | instskip(NEXT) | instid1(VALU_DEP_3)
	v_lshlrev_b32_e32 v12, 2, v17
	v_sub_nc_u32_e32 v4, v1, v4
	s_delay_alu instid0(VALU_DEP_1)
	v_lshlrev_b32_e32 v9, 9, v4
	s_waitcnt lgkmcnt(0)
	s_add_u32 s2, s16, s2
	s_addc_u32 s3, s17, s3
	v_mul_lo_u32 v8, v3, s36
	s_load_b32 s2, s[2:3], 0x0
	v_ashrrev_i32_e32 v10, 31, v9
	s_delay_alu instid0(VALU_DEP_2) | instskip(SKIP_2) | instid1(SALU_CYCLE_1)
	v_ashrrev_i32_e32 v11, 31, v8
	s_waitcnt lgkmcnt(0)
	s_mul_i32 s2, s2, s37
	s_ashr_i32 s3, s2, 31
	s_add_u32 s2, s4, s2
	s_addc_u32 s3, s5, s3
	v_add_co_u32 v0, vcc_lo, s2, v8
	v_add_co_ci_u32_e32 v4, vcc_lo, s3, v11, vcc_lo
	v_cmp_lt_i64_e64 s2, s[44:45], 1
	s_delay_alu instid0(VALU_DEP_3) | instskip(NEXT) | instid1(VALU_DEP_3)
	v_add_co_u32 v0, vcc_lo, v0, v9
	v_add_co_ci_u32_e32 v5, vcc_lo, v4, v10, vcc_lo
	s_delay_alu instid0(VALU_DEP_2) | instskip(NEXT) | instid1(VALU_DEP_2)
	v_add_co_u32 v4, vcc_lo, v0, v12
	v_add_co_ci_u32_e32 v5, vcc_lo, 0, v5, vcc_lo
	s_and_b32 vcc_lo, exec_lo, s2
	s_mov_b32 s2, 0
	s_clause 0x3
	global_load_b32 v13, v[4:5], off
	global_load_b32 v15, v[4:5], off offset:128
	global_load_b32 v16, v[4:5], off offset:256
	;; [unrolled: 1-line block ×3, first 2 shown]
	s_cbranch_vccnz .LBB0_19
; %bb.5:
	s_or_b64 s[4:5], s[22:23], s[26:27]
	s_delay_alu instid0(SALU_CYCLE_1) | instskip(NEXT) | instid1(SALU_CYCLE_1)
	s_mov_b32 s3, s5
	s_cmp_lg_u64 s[2:3], 0
	s_cbranch_scc0 .LBB0_21
; %bb.6:
	s_ashr_i32 s2, s27, 31
	s_delay_alu instid0(SALU_CYCLE_1) | instskip(SKIP_2) | instid1(SALU_CYCLE_1)
	s_add_u32 s4, s26, s2
	s_mov_b32 s3, s2
	s_addc_u32 s5, s27, s2
	s_xor_b64 s[4:5], s[4:5], s[2:3]
	s_delay_alu instid0(SALU_CYCLE_1) | instskip(SKIP_3) | instid1(VALU_DEP_1)
	v_cvt_f32_u32_e32 v0, s4
	v_cvt_f32_u32_e32 v4, s5
	s_sub_u32 s27, 0, s4
	s_subb_u32 s28, 0, s5
	v_fmamk_f32 v0, v4, 0x4f800000, v0
	s_delay_alu instid0(VALU_DEP_1) | instskip(SKIP_2) | instid1(VALU_DEP_1)
	v_rcp_f32_e32 v0, v0
	s_waitcnt_depctr 0xfff
	v_mul_f32_e32 v0, 0x5f7ffffc, v0
	v_mul_f32_e32 v4, 0x2f800000, v0
	s_delay_alu instid0(VALU_DEP_1) | instskip(NEXT) | instid1(VALU_DEP_1)
	v_trunc_f32_e32 v4, v4
	v_fmamk_f32 v0, v4, 0xcf800000, v0
	v_cvt_u32_f32_e32 v4, v4
	s_delay_alu instid0(VALU_DEP_2) | instskip(NEXT) | instid1(VALU_DEP_2)
	v_cvt_u32_f32_e32 v0, v0
	v_readfirstlane_b32 s16, v4
	s_delay_alu instid0(VALU_DEP_2) | instskip(NEXT) | instid1(VALU_DEP_2)
	v_readfirstlane_b32 s17, v0
	s_mul_i32 s29, s27, s16
	s_delay_alu instid0(VALU_DEP_1)
	s_mul_hi_u32 s31, s27, s17
	s_mul_i32 s30, s28, s17
	s_add_i32 s29, s31, s29
	s_mul_i32 s33, s27, s17
	s_add_i32 s29, s29, s30
	s_mul_hi_u32 s31, s17, s33
	s_mul_hi_u32 s36, s16, s33
	s_mul_i32 s30, s16, s33
	s_mul_hi_u32 s33, s17, s29
	s_mul_i32 s17, s17, s29
	s_mul_hi_u32 s46, s16, s29
	s_add_u32 s17, s31, s17
	s_addc_u32 s31, 0, s33
	s_add_u32 s17, s17, s30
	s_mul_i32 s29, s16, s29
	s_addc_u32 s17, s31, s36
	s_addc_u32 s30, s46, 0
	s_add_u32 s17, s17, s29
	s_addc_u32 s29, 0, s30
	v_add_co_u32 v0, s17, v0, s17
	s_delay_alu instid0(VALU_DEP_1) | instskip(SKIP_1) | instid1(VALU_DEP_1)
	s_cmp_lg_u32 s17, 0
	s_addc_u32 s16, s16, s29
	v_readfirstlane_b32 s17, v0
	s_mul_i32 s29, s27, s16
	s_delay_alu instid0(VALU_DEP_1)
	s_mul_hi_u32 s30, s27, s17
	s_mul_i32 s28, s28, s17
	s_add_i32 s29, s30, s29
	s_mul_i32 s27, s27, s17
	s_add_i32 s29, s29, s28
	s_mul_hi_u32 s30, s16, s27
	s_mul_i32 s31, s16, s27
	s_mul_hi_u32 s27, s17, s27
	s_mul_hi_u32 s33, s17, s29
	s_mul_i32 s17, s17, s29
	s_mul_hi_u32 s28, s16, s29
	s_add_u32 s17, s27, s17
	s_addc_u32 s27, 0, s33
	s_add_u32 s17, s17, s31
	s_mul_i32 s29, s16, s29
	s_addc_u32 s17, s27, s30
	s_addc_u32 s27, s28, 0
	s_add_u32 s17, s17, s29
	s_addc_u32 s27, 0, s27
	v_add_co_u32 v0, s17, v0, s17
	s_delay_alu instid0(VALU_DEP_1) | instskip(SKIP_2) | instid1(VALU_DEP_1)
	s_cmp_lg_u32 s17, 0
	s_addc_u32 s27, s16, s27
	s_ashr_i32 s16, s23, 31
	v_readfirstlane_b32 s30, v0
	s_add_u32 s28, s22, s16
	s_mov_b32 s17, s16
	s_addc_u32 s29, s23, s16
	s_delay_alu instid0(SALU_CYCLE_1) | instskip(NEXT) | instid1(SALU_CYCLE_1)
	s_xor_b64 s[28:29], s[28:29], s[16:17]
	s_mul_i32 s33, s28, s27
	s_mul_hi_u32 s36, s28, s30
	s_mul_hi_u32 s31, s28, s27
	s_mul_hi_u32 s47, s29, s30
	s_mul_i32 s30, s29, s30
	s_add_u32 s33, s36, s33
	s_addc_u32 s31, 0, s31
	s_mul_hi_u32 s46, s29, s27
	s_add_u32 s30, s33, s30
	s_mul_i32 s27, s29, s27
	s_addc_u32 s30, s31, s47
	s_addc_u32 s31, s46, 0
	s_add_u32 s27, s30, s27
	s_addc_u32 s30, 0, s31
	s_mul_i32 s46, s4, s27
	s_mul_hi_u32 s31, s4, s27
	s_mul_i32 s36, s4, s30
	v_sub_co_u32 v0, s28, s28, s46
	s_mul_i32 s33, s5, s27
	s_add_i32 s31, s31, s36
	s_delay_alu instid0(SALU_CYCLE_1) | instskip(NEXT) | instid1(VALU_DEP_1)
	s_add_i32 s31, s31, s33
	v_sub_co_u32 v4, s36, v0, s4
	s_sub_i32 s33, s29, s31
	s_cmp_lg_u32 s28, 0
	s_subb_u32 s33, s33, s5
	s_cmp_lg_u32 s36, 0
	v_readfirstlane_b32 s36, v4
	s_subb_u32 s33, s33, 0
	s_delay_alu instid0(SALU_CYCLE_1) | instskip(SKIP_1) | instid1(VALU_DEP_1)
	s_cmp_ge_u32 s33, s5
	s_cselect_b32 s46, -1, 0
	s_cmp_ge_u32 s36, s4
	s_cselect_b32 s36, -1, 0
	s_cmp_eq_u32 s33, s5
	s_cselect_b32 s33, s36, s46
	s_add_u32 s36, s27, 1
	s_addc_u32 s46, s30, 0
	s_add_u32 s47, s27, 2
	s_addc_u32 s48, s30, 0
	s_cmp_lg_u32 s33, 0
	s_cselect_b32 s33, s47, s36
	s_cselect_b32 s36, s48, s46
	s_cmp_lg_u32 s28, 0
	v_readfirstlane_b32 s28, v0
	s_subb_u32 s29, s29, s31
	s_delay_alu instid0(SALU_CYCLE_1) | instskip(SKIP_1) | instid1(VALU_DEP_1)
	s_cmp_ge_u32 s29, s5
	s_cselect_b32 s31, -1, 0
	s_cmp_ge_u32 s28, s4
	s_cselect_b32 s4, -1, 0
	s_cmp_eq_u32 s29, s5
	s_cselect_b32 s4, s4, s31
	s_delay_alu instid0(SALU_CYCLE_1) | instskip(SKIP_3) | instid1(SALU_CYCLE_1)
	s_cmp_lg_u32 s4, 0
	s_cselect_b32 s5, s36, s30
	s_cselect_b32 s4, s33, s27
	s_xor_b64 s[2:3], s[16:17], s[2:3]
	s_xor_b64 s[16:17], s[4:5], s[2:3]
	s_delay_alu instid0(SALU_CYCLE_1)
	s_sub_u32 s2, s16, s2
	s_subb_u32 s3, s17, s3
	s_load_b128 s[28:31], s[0:1], 0x60
	s_cbranch_execnz .LBB0_8
.LBB0_7:
	v_cvt_f32_u32_e32 v0, s26
	s_sub_i32 s1, 0, s26
	s_delay_alu instid0(VALU_DEP_1) | instskip(SKIP_2) | instid1(VALU_DEP_1)
	v_rcp_iflag_f32_e32 v0, v0
	s_waitcnt_depctr 0xfff
	v_mul_f32_e32 v0, 0x4f7ffffe, v0
	v_cvt_u32_f32_e32 v0, v0
	s_delay_alu instid0(VALU_DEP_1) | instskip(NEXT) | instid1(VALU_DEP_1)
	v_readfirstlane_b32 s0, v0
	s_mul_i32 s1, s1, s0
	s_delay_alu instid0(SALU_CYCLE_1) | instskip(NEXT) | instid1(SALU_CYCLE_1)
	s_mul_hi_u32 s1, s0, s1
	s_add_i32 s0, s0, s1
	s_delay_alu instid0(SALU_CYCLE_1) | instskip(NEXT) | instid1(SALU_CYCLE_1)
	s_mul_hi_u32 s0, s22, s0
	s_mul_i32 s1, s0, s26
	s_add_i32 s2, s0, 1
	s_sub_i32 s1, s22, s1
	s_delay_alu instid0(SALU_CYCLE_1)
	s_sub_i32 s3, s1, s26
	s_cmp_ge_u32 s1, s26
	s_cselect_b32 s0, s2, s0
	s_cselect_b32 s1, s3, s1
	s_add_i32 s2, s0, 1
	s_cmp_ge_u32 s1, s26
	s_mov_b32 s3, 0
	s_cselect_b32 s2, s2, s0
.LBB0_8:
	v_ashrrev_i32_e32 v0, 31, v3
	v_mov_b32_e32 v4, 0
                                        ; implicit-def: $vgpr6_vgpr7
	s_mov_b32 s0, exec_lo
	s_delay_alu instid0(VALU_DEP_2) | instskip(NEXT) | instid1(VALU_DEP_1)
	v_or_b32_e32 v5, s3, v0
	v_cmpx_ne_u64_e32 0, v[4:5]
	s_xor_b32 s1, exec_lo, s0
	s_cbranch_execz .LBB0_10
; %bb.9:
	s_ashr_i32 s4, s3, 31
	s_delay_alu instid0(SALU_CYCLE_1) | instskip(SKIP_2) | instid1(SALU_CYCLE_1)
	s_add_u32 s16, s2, s4
	s_mov_b32 s5, s4
	s_addc_u32 s17, s3, s4
	s_xor_b64 s[16:17], s[16:17], s[4:5]
	s_delay_alu instid0(SALU_CYCLE_1) | instskip(SKIP_3) | instid1(VALU_DEP_1)
	v_cvt_f32_u32_e32 v5, s16
	v_cvt_f32_u32_e32 v6, s17
	s_sub_u32 s0, 0, s16
	s_subb_u32 s3, 0, s17
	v_fmamk_f32 v5, v6, 0x4f800000, v5
	s_delay_alu instid0(VALU_DEP_1) | instskip(SKIP_2) | instid1(VALU_DEP_1)
	v_rcp_f32_e32 v5, v5
	s_waitcnt_depctr 0xfff
	v_mul_f32_e32 v5, 0x5f7ffffc, v5
	v_mul_f32_e32 v6, 0x2f800000, v5
	s_delay_alu instid0(VALU_DEP_1) | instskip(NEXT) | instid1(VALU_DEP_1)
	v_trunc_f32_e32 v6, v6
	v_fmamk_f32 v5, v6, 0xcf800000, v5
	v_cvt_u32_f32_e32 v6, v6
	s_delay_alu instid0(VALU_DEP_2) | instskip(NEXT) | instid1(VALU_DEP_2)
	v_cvt_u32_f32_e32 v5, v5
	v_mul_lo_u32 v7, s0, v6
	s_delay_alu instid0(VALU_DEP_2) | instskip(SKIP_1) | instid1(VALU_DEP_2)
	v_mul_hi_u32 v18, s0, v5
	v_mul_lo_u32 v19, s3, v5
	v_add_nc_u32_e32 v7, v18, v7
	v_mul_lo_u32 v18, s0, v5
	s_delay_alu instid0(VALU_DEP_2) | instskip(NEXT) | instid1(VALU_DEP_2)
	v_add_nc_u32_e32 v7, v7, v19
	v_mul_hi_u32 v19, v5, v18
	s_delay_alu instid0(VALU_DEP_2)
	v_mul_lo_u32 v20, v5, v7
	v_mul_hi_u32 v21, v5, v7
	v_mul_hi_u32 v22, v6, v18
	v_mul_lo_u32 v18, v6, v18
	v_mul_hi_u32 v23, v6, v7
	v_mul_lo_u32 v7, v6, v7
	v_add_co_u32 v19, vcc_lo, v19, v20
	v_add_co_ci_u32_e32 v20, vcc_lo, 0, v21, vcc_lo
	s_delay_alu instid0(VALU_DEP_2) | instskip(NEXT) | instid1(VALU_DEP_2)
	v_add_co_u32 v18, vcc_lo, v19, v18
	v_add_co_ci_u32_e32 v18, vcc_lo, v20, v22, vcc_lo
	v_add_co_ci_u32_e32 v19, vcc_lo, 0, v23, vcc_lo
	v_mov_b32_e32 v22, v0
	s_delay_alu instid0(VALU_DEP_3) | instskip(NEXT) | instid1(VALU_DEP_3)
	v_add_co_u32 v7, vcc_lo, v18, v7
	v_add_co_ci_u32_e32 v18, vcc_lo, 0, v19, vcc_lo
	v_mov_b32_e32 v23, v0
	s_delay_alu instid0(VALU_DEP_3) | instskip(NEXT) | instid1(VALU_DEP_3)
	v_add_co_u32 v5, vcc_lo, v5, v7
	v_add_co_ci_u32_e32 v6, vcc_lo, v6, v18, vcc_lo
	s_delay_alu instid0(VALU_DEP_2) | instskip(SKIP_1) | instid1(VALU_DEP_3)
	v_mul_hi_u32 v7, s0, v5
	v_mul_lo_u32 v19, s3, v5
	v_mul_lo_u32 v18, s0, v6
	s_delay_alu instid0(VALU_DEP_1) | instskip(SKIP_1) | instid1(VALU_DEP_2)
	v_add_nc_u32_e32 v7, v7, v18
	v_mul_lo_u32 v18, s0, v5
	v_add_nc_u32_e32 v7, v7, v19
	s_delay_alu instid0(VALU_DEP_2) | instskip(NEXT) | instid1(VALU_DEP_2)
	v_mul_hi_u32 v19, v5, v18
	v_mul_lo_u32 v20, v5, v7
	v_mul_hi_u32 v21, v5, v7
	v_mul_hi_u32 v24, v6, v18
	v_mul_lo_u32 v18, v6, v18
	v_mul_hi_u32 v25, v6, v7
	v_mul_lo_u32 v7, v6, v7
	v_add_co_u32 v19, vcc_lo, v19, v20
	v_add_co_ci_u32_e32 v20, vcc_lo, 0, v21, vcc_lo
	s_delay_alu instid0(VALU_DEP_2) | instskip(NEXT) | instid1(VALU_DEP_2)
	v_add_co_u32 v18, vcc_lo, v19, v18
	v_add_co_ci_u32_e32 v18, vcc_lo, v20, v24, vcc_lo
	v_add_co_ci_u32_e32 v19, vcc_lo, 0, v25, vcc_lo
	v_add_co_u32 v20, vcc_lo, v3, v22
	v_add_co_ci_u32_e32 v0, vcc_lo, v0, v23, vcc_lo
	s_delay_alu instid0(VALU_DEP_4) | instskip(NEXT) | instid1(VALU_DEP_4)
	v_add_co_u32 v7, vcc_lo, v18, v7
	v_add_co_ci_u32_e32 v18, vcc_lo, 0, v19, vcc_lo
	s_delay_alu instid0(VALU_DEP_4) | instskip(NEXT) | instid1(VALU_DEP_3)
	v_xor_b32_e32 v24, v20, v22
	v_add_co_u32 v7, vcc_lo, v5, v7
	s_delay_alu instid0(VALU_DEP_3) | instskip(SKIP_1) | instid1(VALU_DEP_3)
	v_add_co_ci_u32_e32 v25, vcc_lo, v6, v18, vcc_lo
	v_xor_b32_e32 v0, v0, v23
	v_mul_hi_u32 v23, v24, v7
	s_delay_alu instid0(VALU_DEP_3) | instskip(NEXT) | instid1(VALU_DEP_3)
	v_mad_u64_u32 v[5:6], null, v24, v25, 0
	v_mad_u64_u32 v[18:19], null, v0, v7, 0
	;; [unrolled: 1-line block ×3, first 2 shown]
	s_delay_alu instid0(VALU_DEP_3) | instskip(NEXT) | instid1(VALU_DEP_4)
	v_add_co_u32 v5, vcc_lo, v23, v5
	v_add_co_ci_u32_e32 v6, vcc_lo, 0, v6, vcc_lo
	s_delay_alu instid0(VALU_DEP_2) | instskip(NEXT) | instid1(VALU_DEP_2)
	v_add_co_u32 v5, vcc_lo, v5, v18
	v_add_co_ci_u32_e32 v5, vcc_lo, v6, v19, vcc_lo
	v_add_co_ci_u32_e32 v6, vcc_lo, 0, v21, vcc_lo
	s_delay_alu instid0(VALU_DEP_2) | instskip(NEXT) | instid1(VALU_DEP_2)
	v_add_co_u32 v7, vcc_lo, v5, v20
	v_add_co_ci_u32_e32 v18, vcc_lo, 0, v6, vcc_lo
	s_delay_alu instid0(VALU_DEP_2) | instskip(SKIP_1) | instid1(VALU_DEP_3)
	v_mul_lo_u32 v19, s17, v7
	v_mad_u64_u32 v[5:6], null, s16, v7, 0
	v_mul_lo_u32 v18, s16, v18
	s_delay_alu instid0(VALU_DEP_2) | instskip(NEXT) | instid1(VALU_DEP_2)
	v_sub_co_u32 v5, vcc_lo, v24, v5
	v_add3_u32 v6, v6, v18, v19
	v_add_co_u32 v19, s0, v7, 2
	s_delay_alu instid0(VALU_DEP_2) | instskip(NEXT) | instid1(VALU_DEP_1)
	v_sub_nc_u32_e32 v18, v0, v6
	v_subrev_co_ci_u32_e64 v18, s0, s17, v18, vcc_lo
	v_sub_co_u32 v20, s0, v5, s16
	v_sub_co_ci_u32_e32 v0, vcc_lo, v0, v6, vcc_lo
	s_delay_alu instid0(VALU_DEP_3) | instskip(NEXT) | instid1(VALU_DEP_3)
	v_subrev_co_ci_u32_e64 v18, s0, 0, v18, s0
	v_cmp_le_u32_e32 vcc_lo, s16, v20
	v_cndmask_b32_e64 v6, 0, -1, vcc_lo
	s_delay_alu instid0(VALU_DEP_3)
	v_cmp_le_u32_e32 vcc_lo, s17, v18
	v_cndmask_b32_e64 v20, 0, -1, vcc_lo
	v_cmp_le_u32_e32 vcc_lo, s16, v5
	v_cndmask_b32_e64 v5, 0, -1, vcc_lo
	;; [unrolled: 2-line block ×3, first 2 shown]
	v_cmp_eq_u32_e32 vcc_lo, s17, v18
	v_cndmask_b32_e32 v6, v20, v6, vcc_lo
	v_add_co_u32 v18, vcc_lo, v7, 1
	v_cmp_eq_u32_e32 vcc_lo, s17, v0
	v_cndmask_b32_e32 v0, v21, v5, vcc_lo
	s_delay_alu instid0(VALU_DEP_4) | instskip(NEXT) | instid1(VALU_DEP_4)
	v_cmp_ne_u32_e32 vcc_lo, 0, v6
	v_cndmask_b32_e32 v5, v18, v19, vcc_lo
	s_delay_alu instid0(VALU_DEP_3) | instskip(NEXT) | instid1(VALU_DEP_2)
	v_cmp_ne_u32_e32 vcc_lo, 0, v0
	v_cndmask_b32_e32 v0, v7, v5, vcc_lo
	v_xor_b32_e32 v5, s4, v22
	s_delay_alu instid0(VALU_DEP_1) | instskip(NEXT) | instid1(VALU_DEP_1)
	v_xor_b32_e32 v0, v0, v5
	v_sub_co_u32 v6, vcc_lo, v0, v5
.LBB0_10:
	s_or_saveexec_b32 s0, s1
	v_mov_b32_e32 v5, v3
	s_xor_b32 exec_lo, exec_lo, s0
	s_cbranch_execz .LBB0_12
; %bb.11:
	v_cvt_f32_u32_e32 v0, s2
	s_sub_i32 s1, 0, s2
	s_delay_alu instid0(VALU_DEP_1) | instskip(SKIP_2) | instid1(VALU_DEP_1)
	v_rcp_iflag_f32_e32 v0, v0
	s_waitcnt_depctr 0xfff
	v_mul_f32_e32 v0, 0x4f7ffffe, v0
	v_cvt_u32_f32_e32 v0, v0
	s_delay_alu instid0(VALU_DEP_1) | instskip(NEXT) | instid1(VALU_DEP_1)
	v_mul_lo_u32 v6, s1, v0
	v_mul_hi_u32 v6, v0, v6
	s_delay_alu instid0(VALU_DEP_1) | instskip(NEXT) | instid1(VALU_DEP_1)
	v_add_nc_u32_e32 v0, v0, v6
	v_mul_hi_u32 v0, v5, v0
	s_delay_alu instid0(VALU_DEP_1) | instskip(NEXT) | instid1(VALU_DEP_1)
	v_mul_lo_u32 v6, v0, s2
	v_sub_nc_u32_e32 v6, v5, v6
	s_delay_alu instid0(VALU_DEP_1) | instskip(SKIP_1) | instid1(VALU_DEP_2)
	v_subrev_nc_u32_e32 v18, s2, v6
	v_cmp_le_u32_e32 vcc_lo, s2, v6
	v_dual_cndmask_b32 v6, v6, v18 :: v_dual_add_nc_u32 v7, 1, v0
	s_delay_alu instid0(VALU_DEP_1) | instskip(NEXT) | instid1(VALU_DEP_2)
	v_cndmask_b32_e32 v0, v0, v7, vcc_lo
	v_cmp_le_u32_e32 vcc_lo, s2, v6
	s_delay_alu instid0(VALU_DEP_2) | instskip(NEXT) | instid1(VALU_DEP_1)
	v_add_nc_u32_e32 v7, 1, v0
	v_cndmask_b32_e32 v6, v0, v7, vcc_lo
.LBB0_12:
	s_or_b32 exec_lo, exec_lo, s0
	s_mul_i32 s2, s24, s23
	s_mul_hi_u32 s4, s24, s22
	s_mul_i32 s5, s25, s22
	s_add_i32 s4, s4, s2
	s_mul_i32 s2, s24, s22
	s_add_i32 s4, s4, s5
	s_mul_i32 s22, s2, s35
	s_mul_hi_u32 s23, s2, s34
	s_mul_i32 s4, s4, s34
	s_add_i32 s5, s23, s22
	s_mul_i32 s22, s2, s34
	s_add_i32 s4, s5, s4
	s_mul_i32 s5, s22, s45
	s_mul_hi_u32 s23, s22, s44
	s_mul_i32 s4, s4, s44
	s_add_i32 s5, s23, s5
	s_waitcnt lgkmcnt(0)
	s_mul_i32 s26, s34, s30
	s_add_i32 s5, s5, s4
	s_mul_i32 s4, s22, s44
	s_mul_i32 s1, s34, s39
	;; [unrolled: 1-line block ×3, first 2 shown]
	v_lshlrev_b64 v[19:20], 2, v[1:2]
	s_lshl_b64 s[4:5], s[4:5], 2
	s_ashr_i32 s0, s43, 2
	s_ashr_i32 s16, s38, 2
	;; [unrolled: 1-line block ×4, first 2 shown]
	v_mul_lo_u32 v7, v3, s42
	s_ashr_i32 s23, s17, 31
	s_add_u32 s4, s18, s4
	v_ashrrev_i64 v[2:3], 30, v[4:5]
	s_addc_u32 s5, s19, s5
	s_add_u32 s1, s6, s1
	s_addc_u32 s3, s7, s3
	v_add_co_u32 v0, vcc_lo, s1, v19
	s_add_u32 s1, s8, s17
	v_add_co_ci_u32_e32 v1, vcc_lo, s3, v20, vcc_lo
	v_ashrrev_i32_e32 v5, 31, v7
	s_addc_u32 s3, s9, s23
	v_add_co_u32 v2, vcc_lo, s1, v2
	v_add_co_ci_u32_e32 v3, vcc_lo, s3, v3, vcc_lo
	v_add_co_u32 v4, vcc_lo, s10, v7
	v_add_co_ci_u32_e32 v5, vcc_lo, s11, v5, vcc_lo
	v_lshlrev_b32_e32 v18, 9, v6
	v_add_co_u32 v6, vcc_lo, s4, v19
	v_add_co_ci_u32_e32 v7, vcc_lo, s5, v20, vcc_lo
	v_mbcnt_lo_u32_b32 v20, -1, 0
	s_ashr_i32 s4, s40, 2
	s_mul_i32 s8, s34, s28
	s_ashr_i32 s10, s29, 2
	s_ashr_i32 s5, s4, 31
	v_xor_b32_e32 v21, 16, v20
	v_xor_b32_e32 v22, 8, v20
	;; [unrolled: 1-line block ×5, first 2 shown]
	v_cmp_gt_i32_e32 vcc_lo, 32, v21
	s_ashr_i32 s17, s16, 31
	s_bfe_i64 s[2:3], s[2:3], 0x200000
	s_ashr_i32 s9, s8, 31
	s_ashr_i32 s1, s0, 31
	v_cndmask_b32_e32 v21, v20, v21, vcc_lo
	v_cmp_gt_i32_e32 vcc_lo, 32, v22
	s_ashr_i32 s11, s10, 31
	s_lshl_b64 s[2:3], s[2:3], 2
	s_lshl_b64 s[4:5], s[4:5], 2
	;; [unrolled: 1-line block ×3, first 2 shown]
	v_cndmask_b32_e32 v22, v20, v22, vcc_lo
	v_cmp_gt_i32_e32 vcc_lo, 32, v23
	s_add_u32 s8, s12, s8
	s_addc_u32 s9, s13, s9
	v_ashrrev_i32_e32 v19, 31, v18
	s_mov_b32 s12, 0x3e9b6dac
	v_cndmask_b32_e32 v23, v20, v23, vcc_lo
	v_cmp_gt_i32_e32 vcc_lo, 32, v24
	v_cndmask_b32_e32 v24, v20, v24, vcc_lo
	v_cmp_gt_i32_e32 vcc_lo, 32, v25
	v_cndmask_b32_e32 v25, v20, v25, vcc_lo
	v_cmp_eq_u32_e32 vcc_lo, 0, v17
	v_add_co_u32 v17, s8, s8, v12
	v_lshlrev_b32_e32 v20, 2, v21
	v_lshlrev_b32_e32 v21, 2, v22
	;; [unrolled: 1-line block ×5, first 2 shown]
	v_add_co_ci_u32_e64 v25, null, s9, 0, s8
	s_lshl_b64 s[8:9], s[0:1], 2
	s_add_u32 s0, s14, s26
	s_addc_u32 s1, s15, s27
	v_add_co_u32 v26, s0, s0, v12
	s_delay_alu instid0(VALU_DEP_1)
	v_add_co_ci_u32_e64 v27, null, s1, 0, s0
	s_lshl_b64 s[10:11], s[10:11], 2
.LBB0_13:                               ; =>This Inner Loop Header: Depth=1
	global_load_b32 v28, v[2:3], off
	s_mov_b32 s13, exec_lo
	s_waitcnt vmcnt(0)
	v_cmpx_ge_f32_e32 0x41a00000, v28
	s_cbranch_execz .LBB0_15
; %bb.14:                               ;   in Loop: Header=BB0_13 Depth=1
	v_mul_f32_e32 v29, 0x3fb8aa3b, v28
	v_cmp_ngt_f32_e64 s0, 0xc2ce8ed0, v28
	s_delay_alu instid0(VALU_DEP_2) | instskip(SKIP_1) | instid1(VALU_DEP_2)
	v_rndne_f32_e32 v30, v29
	v_fma_f32 v31, 0x3fb8aa3b, v28, -v29
	v_sub_f32_e32 v29, v29, v30
	s_delay_alu instid0(VALU_DEP_2) | instskip(SKIP_1) | instid1(VALU_DEP_2)
	v_fmac_f32_e32 v31, 0x32a5705f, v28
	v_cvt_i32_f32_e32 v30, v30
	v_add_f32_e32 v29, v29, v31
	s_delay_alu instid0(VALU_DEP_1) | instskip(SKIP_2) | instid1(VALU_DEP_1)
	v_exp_f32_e32 v29, v29
	s_waitcnt_depctr 0xfff
	v_ldexp_f32 v29, v29, v30
	v_cndmask_b32_e64 v29, 0, v29, s0
	v_cmp_nlt_f32_e64 s0, 0x42b17218, v28
	s_delay_alu instid0(VALU_DEP_1) | instskip(NEXT) | instid1(VALU_DEP_1)
	v_cndmask_b32_e64 v30, 0x7f800000, v29, s0
	v_add_f32_e32 v31, 1.0, v30
	v_cmp_gt_f32_e64 s1, 0x33800000, v30
	s_delay_alu instid0(VALU_DEP_2) | instskip(NEXT) | instid1(VALU_DEP_1)
	v_cvt_f64_f32_e32 v[28:29], v31
	v_frexp_exp_i32_f64_e32 v28, v[28:29]
	v_frexp_mant_f32_e32 v29, v31
	s_delay_alu instid0(VALU_DEP_1) | instskip(SKIP_1) | instid1(VALU_DEP_1)
	v_cmp_gt_f32_e64 s0, 0x3f2aaaab, v29
	v_add_f32_e32 v29, -1.0, v31
	v_sub_f32_e32 v33, v29, v31
	v_sub_f32_e32 v29, v30, v29
	s_delay_alu instid0(VALU_DEP_2) | instskip(NEXT) | instid1(VALU_DEP_1)
	v_add_f32_e32 v33, 1.0, v33
	v_add_f32_e32 v29, v29, v33
	v_subrev_co_ci_u32_e64 v28, s0, 0, v28, s0
	v_cmp_eq_f32_e64 s0, 0x7f800000, v30
	s_delay_alu instid0(VALU_DEP_2) | instskip(SKIP_1) | instid1(VALU_DEP_3)
	v_sub_nc_u32_e32 v32, 0, v28
	v_cvt_f32_i32_e32 v28, v28
	s_or_b32 s0, s1, s0
	s_delay_alu instid0(VALU_DEP_2) | instskip(SKIP_1) | instid1(VALU_DEP_2)
	v_ldexp_f32 v31, v31, v32
	v_ldexp_f32 v29, v29, v32
	v_add_f32_e32 v34, 1.0, v31
	s_delay_alu instid0(VALU_DEP_1) | instskip(NEXT) | instid1(VALU_DEP_1)
	v_dual_add_f32 v32, -1.0, v31 :: v_dual_add_f32 v33, -1.0, v34
	v_add_f32_e32 v35, 1.0, v32
	s_delay_alu instid0(VALU_DEP_2) | instskip(NEXT) | instid1(VALU_DEP_2)
	v_sub_f32_e32 v33, v31, v33
	v_sub_f32_e32 v31, v31, v35
	s_delay_alu instid0(VALU_DEP_2) | instskip(NEXT) | instid1(VALU_DEP_1)
	v_add_f32_e32 v33, v29, v33
	v_add_f32_e32 v35, v34, v33
	s_delay_alu instid0(VALU_DEP_3) | instskip(NEXT) | instid1(VALU_DEP_2)
	v_add_f32_e32 v29, v29, v31
	v_rcp_f32_e32 v31, v35
	s_delay_alu instid0(VALU_DEP_1) | instskip(SKIP_1) | instid1(VALU_DEP_1)
	v_add_f32_e32 v36, v32, v29
	v_sub_f32_e32 v34, v34, v35
	v_dual_sub_f32 v32, v32, v36 :: v_dual_add_f32 v33, v33, v34
	s_waitcnt_depctr 0xfff
	v_mul_f32_e32 v37, v36, v31
	s_delay_alu instid0(VALU_DEP_1) | instskip(NEXT) | instid1(VALU_DEP_1)
	v_dual_add_f32 v29, v29, v32 :: v_dual_mul_f32 v38, v35, v37
	v_fma_f32 v34, v37, v35, -v38
	s_delay_alu instid0(VALU_DEP_1) | instskip(NEXT) | instid1(VALU_DEP_1)
	v_fmac_f32_e32 v34, v37, v33
	v_add_f32_e32 v39, v38, v34
	s_delay_alu instid0(VALU_DEP_1) | instskip(SKIP_1) | instid1(VALU_DEP_2)
	v_sub_f32_e32 v40, v36, v39
	v_sub_f32_e32 v32, v39, v38
	;; [unrolled: 1-line block ×3, first 2 shown]
	s_delay_alu instid0(VALU_DEP_2) | instskip(NEXT) | instid1(VALU_DEP_2)
	v_sub_f32_e32 v32, v32, v34
	v_sub_f32_e32 v36, v36, v39
	s_delay_alu instid0(VALU_DEP_1) | instskip(NEXT) | instid1(VALU_DEP_1)
	v_add_f32_e32 v29, v29, v36
	v_add_f32_e32 v29, v32, v29
	s_delay_alu instid0(VALU_DEP_1) | instskip(NEXT) | instid1(VALU_DEP_1)
	v_add_f32_e32 v32, v40, v29
	v_mul_f32_e32 v34, v31, v32
	s_delay_alu instid0(VALU_DEP_1) | instskip(NEXT) | instid1(VALU_DEP_1)
	v_dual_sub_f32 v39, v40, v32 :: v_dual_mul_f32 v36, v35, v34
	v_add_f32_e32 v29, v29, v39
	s_delay_alu instid0(VALU_DEP_2) | instskip(NEXT) | instid1(VALU_DEP_1)
	v_fma_f32 v35, v34, v35, -v36
	v_fmac_f32_e32 v35, v34, v33
	s_delay_alu instid0(VALU_DEP_1) | instskip(NEXT) | instid1(VALU_DEP_1)
	v_add_f32_e32 v33, v36, v35
	v_sub_f32_e32 v38, v32, v33
	v_sub_f32_e32 v36, v33, v36
	s_delay_alu instid0(VALU_DEP_2) | instskip(NEXT) | instid1(VALU_DEP_1)
	v_sub_f32_e32 v32, v32, v38
	v_sub_f32_e32 v32, v32, v33
	s_delay_alu instid0(VALU_DEP_3) | instskip(NEXT) | instid1(VALU_DEP_2)
	v_sub_f32_e32 v33, v36, v35
	v_add_f32_e32 v29, v29, v32
	v_add_f32_e32 v32, v37, v34
	s_delay_alu instid0(VALU_DEP_2) | instskip(NEXT) | instid1(VALU_DEP_2)
	v_add_f32_e32 v29, v33, v29
	v_sub_f32_e32 v33, v32, v37
	s_delay_alu instid0(VALU_DEP_2) | instskip(NEXT) | instid1(VALU_DEP_2)
	v_add_f32_e32 v29, v38, v29
	v_sub_f32_e32 v33, v34, v33
	s_delay_alu instid0(VALU_DEP_2) | instskip(NEXT) | instid1(VALU_DEP_1)
	v_mul_f32_e32 v29, v31, v29
	v_add_f32_e32 v29, v33, v29
	s_delay_alu instid0(VALU_DEP_1) | instskip(NEXT) | instid1(VALU_DEP_1)
	v_add_f32_e32 v31, v32, v29
	v_mul_f32_e32 v33, v31, v31
	s_delay_alu instid0(VALU_DEP_1) | instskip(SKIP_1) | instid1(VALU_DEP_2)
	v_fmaak_f32 v34, s12, v33, 0x3ecc95a3
	v_mul_f32_e32 v35, v31, v33
	v_fmaak_f32 v33, v33, v34, 0x3f2aaada
	v_ldexp_f32 v34, v31, 1
	v_sub_f32_e32 v31, v31, v32
	s_delay_alu instid0(VALU_DEP_3) | instskip(SKIP_1) | instid1(VALU_DEP_2)
	v_mul_f32_e32 v33, v35, v33
	v_mul_f32_e32 v35, 0x3f317218, v28
	v_dual_sub_f32 v29, v29, v31 :: v_dual_add_f32 v32, v34, v33
	s_delay_alu instid0(VALU_DEP_1) | instskip(NEXT) | instid1(VALU_DEP_2)
	v_ldexp_f32 v29, v29, 1
	v_sub_f32_e32 v31, v32, v34
	s_delay_alu instid0(VALU_DEP_4) | instskip(NEXT) | instid1(VALU_DEP_1)
	v_fma_f32 v34, 0x3f317218, v28, -v35
	v_dual_sub_f32 v31, v33, v31 :: v_dual_fmac_f32 v34, 0xb102e308, v28
	s_delay_alu instid0(VALU_DEP_1) | instskip(NEXT) | instid1(VALU_DEP_1)
	v_dual_add_f32 v28, v29, v31 :: v_dual_add_f32 v29, v35, v34
	v_add_f32_e32 v31, v32, v28
	s_delay_alu instid0(VALU_DEP_2) | instskip(NEXT) | instid1(VALU_DEP_2)
	v_sub_f32_e32 v35, v29, v35
	v_dual_add_f32 v33, v29, v31 :: v_dual_sub_f32 v32, v31, v32
	s_delay_alu instid0(VALU_DEP_2) | instskip(NEXT) | instid1(VALU_DEP_2)
	v_sub_f32_e32 v34, v34, v35
	v_sub_f32_e32 v36, v33, v29
	s_delay_alu instid0(VALU_DEP_3) | instskip(NEXT) | instid1(VALU_DEP_2)
	v_sub_f32_e32 v28, v28, v32
	v_sub_f32_e32 v37, v33, v36
	;; [unrolled: 1-line block ×3, first 2 shown]
	s_delay_alu instid0(VALU_DEP_2) | instskip(NEXT) | instid1(VALU_DEP_1)
	v_dual_add_f32 v32, v34, v28 :: v_dual_sub_f32 v29, v29, v37
	v_add_f32_e32 v29, v31, v29
	s_delay_alu instid0(VALU_DEP_2) | instskip(NEXT) | instid1(VALU_DEP_2)
	v_sub_f32_e32 v31, v32, v34
	v_add_f32_e32 v29, v32, v29
	s_delay_alu instid0(VALU_DEP_2) | instskip(NEXT) | instid1(VALU_DEP_2)
	v_sub_f32_e32 v32, v32, v31
	v_dual_sub_f32 v28, v28, v31 :: v_dual_add_f32 v35, v33, v29
	s_delay_alu instid0(VALU_DEP_1) | instskip(NEXT) | instid1(VALU_DEP_1)
	v_dual_sub_f32 v32, v34, v32 :: v_dual_sub_f32 v31, v35, v33
	v_dual_add_f32 v28, v28, v32 :: v_dual_sub_f32 v29, v29, v31
	s_delay_alu instid0(VALU_DEP_1) | instskip(NEXT) | instid1(VALU_DEP_1)
	v_add_f32_e32 v28, v28, v29
	v_add_f32_e32 v28, v35, v28
	s_delay_alu instid0(VALU_DEP_1)
	v_cndmask_b32_e64 v28, v28, v30, s0
.LBB0_15:                               ;   in Loop: Header=BB0_13 Depth=1
	s_or_b32 exec_lo, exec_lo, s13
	global_load_b32 v33, v[4:5], off
	global_load_b32 v34, v[0:1], off
	v_add_co_u32 v29, s0, v17, v18
	s_delay_alu instid0(VALU_DEP_1)
	v_add_co_ci_u32_e64 v30, s0, v25, v19, s0
	v_add_co_u32 v31, s0, v26, v18
	s_clause 0x1
	global_load_b32 v35, v[29:30], off
	global_load_b32 v36, v[29:30], off offset:128
	v_add_co_ci_u32_e64 v32, s0, v27, v19, s0
	global_load_b32 v37, v[29:30], off offset:256
	s_clause 0x1
	global_load_b32 v38, v[31:32], off
	global_load_b32 v39, v[31:32], off offset:128
	global_load_b32 v40, v[29:30], off offset:384
	s_clause 0x1
	global_load_b32 v41, v[31:32], off offset:256
	global_load_b32 v32, v[31:32], off offset:384
	s_waitcnt vmcnt(9)
	v_mul_f32_e32 v29, v28, v33
	s_delay_alu instid0(VALU_DEP_1) | instskip(NEXT) | instid1(VALU_DEP_1)
	v_mul_f32_e32 v30, 0x3fb8aa3b, v29
	v_fma_f32 v31, 0x3fb8aa3b, v29, -v30
	v_rndne_f32_e32 v33, v30
	s_delay_alu instid0(VALU_DEP_2) | instskip(NEXT) | instid1(VALU_DEP_2)
	v_fmac_f32_e32 v31, 0x32a5705f, v29
	v_sub_f32_e32 v30, v30, v33
	s_delay_alu instid0(VALU_DEP_1) | instskip(SKIP_2) | instid1(VALU_DEP_3)
	v_add_f32_e32 v30, v30, v31
	v_cvt_i32_f32_e32 v31, v33
	v_cmp_ngt_f32_e64 s0, 0xc2ce8ed0, v29
	v_exp_f32_e32 v30, v30
	s_waitcnt_depctr 0xfff
	v_ldexp_f32 v30, v30, v31
	s_waitcnt vmcnt(8)
	v_mul_f32_e32 v31, v28, v34
	s_delay_alu instid0(VALU_DEP_2) | instskip(SKIP_2) | instid1(VALU_DEP_3)
	v_cndmask_b32_e64 v28, 0, v30, s0
	v_cmp_nlt_f32_e64 s0, 0x42b17218, v29
	s_waitcnt vmcnt(6)
	v_mul_f32_e32 v29, v31, v36
	s_delay_alu instid0(VALU_DEP_2) | instskip(SKIP_1) | instid1(VALU_DEP_1)
	v_cndmask_b32_e64 v33, 0x7f800000, v28, s0
	s_waitcnt vmcnt(5)
	v_dual_mul_f32 v28, v31, v37 :: v_dual_fmac_f32 v29, v33, v15
	s_delay_alu instid0(VALU_DEP_1) | instskip(SKIP_2) | instid1(VALU_DEP_1)
	v_fmac_f32_e32 v28, v33, v16
	v_mul_f32_e32 v30, v31, v35
	s_waitcnt vmcnt(2)
	v_dual_mul_f32 v31, v31, v40 :: v_dual_fmac_f32 v30, v33, v13
	s_delay_alu instid0(VALU_DEP_1) | instskip(NEXT) | instid1(VALU_DEP_2)
	v_fmac_f32_e32 v31, v33, v14
	v_fma_f32 v13, v38, v30, 0
	s_delay_alu instid0(VALU_DEP_1) | instskip(SKIP_1) | instid1(VALU_DEP_1)
	v_fmac_f32_e32 v13, v39, v29
	s_waitcnt vmcnt(1)
	v_fmac_f32_e32 v13, v41, v28
	s_waitcnt vmcnt(0)
	s_delay_alu instid0(VALU_DEP_1)
	v_fmac_f32_e32 v13, v32, v31
	ds_bpermute_b32 v14, v20, v13
	s_waitcnt lgkmcnt(0)
	v_add_f32_e32 v13, v13, v14
	ds_bpermute_b32 v14, v21, v13
	s_waitcnt lgkmcnt(0)
	v_add_f32_e32 v13, v13, v14
	;; [unrolled: 3-line block ×4, first 2 shown]
	ds_bpermute_b32 v14, v24, v13
	s_and_saveexec_b32 s0, vcc_lo
	s_cbranch_execz .LBB0_17
; %bb.16:                               ;   in Loop: Header=BB0_13 Depth=1
	s_waitcnt lgkmcnt(0)
	v_add_f32_e32 v13, v13, v14
	global_store_b32 v[6:7], v13, off
.LBB0_17:                               ;   in Loop: Header=BB0_13 Depth=1
	s_or_b32 exec_lo, exec_lo, s0
	v_add_co_u32 v6, s0, v6, s2
	s_delay_alu instid0(VALU_DEP_1) | instskip(SKIP_1) | instid1(VALU_DEP_1)
	v_add_co_ci_u32_e64 v7, s0, s3, v7, s0
	v_add_co_u32 v2, s0, v2, s4
	v_add_co_ci_u32_e64 v3, s0, s5, v3, s0
	v_add_co_u32 v0, s0, v0, s6
	s_delay_alu instid0(VALU_DEP_1) | instskip(SKIP_1) | instid1(VALU_DEP_1)
	v_add_co_ci_u32_e64 v1, s0, s7, v1, s0
	v_add_co_u32 v17, s0, v17, s8
	v_add_co_ci_u32_e64 v25, s0, s9, v25, s0
	v_add_co_u32 v26, s0, v26, s10
	s_add_u32 s44, s44, -1
	v_add_co_ci_u32_e64 v27, s0, s11, v27, s0
	s_addc_u32 s45, s45, -1
	s_delay_alu instid0(SALU_CYCLE_1)
	s_cmp_eq_u64 s[44:45], 0
	s_cbranch_scc1 .LBB0_20
; %bb.18:                               ;   in Loop: Header=BB0_13 Depth=1
	v_dual_mov_b32 v13, v30 :: v_dual_mov_b32 v16, v28
	s_waitcnt lgkmcnt(0)
	v_dual_mov_b32 v15, v29 :: v_dual_mov_b32 v14, v31
	s_branch .LBB0_13
.LBB0_19:
	s_waitcnt vmcnt(0)
	v_dual_mov_b32 v31, v14 :: v_dual_mov_b32 v28, v16
	v_dual_mov_b32 v29, v15 :: v_dual_mov_b32 v30, v13
.LBB0_20:
	s_mul_i32 s1, s34, s37
	s_add_u32 s0, s18, s20
	s_addc_u32 s2, s19, s21
	s_ashr_i32 s3, s1, 31
	s_add_u32 s0, s0, s1
	s_addc_u32 s1, s2, s3
	v_add_co_u32 v0, vcc_lo, s0, v8
	v_add_co_ci_u32_e32 v1, vcc_lo, s1, v11, vcc_lo
	s_delay_alu instid0(VALU_DEP_2) | instskip(NEXT) | instid1(VALU_DEP_2)
	v_add_co_u32 v0, vcc_lo, v0, v9
	v_add_co_ci_u32_e32 v1, vcc_lo, v1, v10, vcc_lo
	s_delay_alu instid0(VALU_DEP_2) | instskip(NEXT) | instid1(VALU_DEP_2)
	v_add_co_u32 v0, vcc_lo, v0, v12
	v_add_co_ci_u32_e32 v1, vcc_lo, 0, v1, vcc_lo
	s_clause 0x3
	global_store_b32 v[0:1], v30, off
	global_store_b32 v[0:1], v29, off offset:128
	global_store_b32 v[0:1], v28, off offset:256
	;; [unrolled: 1-line block ×3, first 2 shown]
	s_nop 0
	s_sendmsg sendmsg(MSG_DEALLOC_VGPRS)
	s_endpgm
.LBB0_21:
                                        ; implicit-def: $sgpr2_sgpr3
	s_load_b128 s[28:31], s[0:1], 0x60
	s_branch .LBB0_7
	.section	.rodata,"a",@progbits
	.p2align	6, 0x0
	.amdhsa_kernel _Z18ssm_scan_f32_groupILi4ELi128EEvPKfS1_S1_S1_S1_S1_PKiPfiiiiiiiiiiilllll
		.amdhsa_group_segment_fixed_size 0
		.amdhsa_private_segment_fixed_size 0
		.amdhsa_kernarg_size 152
		.amdhsa_user_sgpr_count 14
		.amdhsa_user_sgpr_dispatch_ptr 0
		.amdhsa_user_sgpr_queue_ptr 0
		.amdhsa_user_sgpr_kernarg_segment_ptr 1
		.amdhsa_user_sgpr_dispatch_id 0
		.amdhsa_user_sgpr_private_segment_size 0
		.amdhsa_wavefront_size32 1
		.amdhsa_uses_dynamic_stack 0
		.amdhsa_enable_private_segment 0
		.amdhsa_system_sgpr_workgroup_id_x 1
		.amdhsa_system_sgpr_workgroup_id_y 1
		.amdhsa_system_sgpr_workgroup_id_z 0
		.amdhsa_system_sgpr_workgroup_info 0
		.amdhsa_system_vgpr_workitem_id 0
		.amdhsa_next_free_vgpr 42
		.amdhsa_next_free_sgpr 49
		.amdhsa_reserve_vcc 1
		.amdhsa_float_round_mode_32 0
		.amdhsa_float_round_mode_16_64 0
		.amdhsa_float_denorm_mode_32 3
		.amdhsa_float_denorm_mode_16_64 3
		.amdhsa_dx10_clamp 1
		.amdhsa_ieee_mode 1
		.amdhsa_fp16_overflow 0
		.amdhsa_workgroup_processor_mode 1
		.amdhsa_memory_ordered 1
		.amdhsa_forward_progress 0
		.amdhsa_shared_vgpr_count 0
		.amdhsa_exception_fp_ieee_invalid_op 0
		.amdhsa_exception_fp_denorm_src 0
		.amdhsa_exception_fp_ieee_div_zero 0
		.amdhsa_exception_fp_ieee_overflow 0
		.amdhsa_exception_fp_ieee_underflow 0
		.amdhsa_exception_fp_ieee_inexact 0
		.amdhsa_exception_int_div_zero 0
	.end_amdhsa_kernel
	.section	.text._Z18ssm_scan_f32_groupILi4ELi128EEvPKfS1_S1_S1_S1_S1_PKiPfiiiiiiiiiiilllll,"axG",@progbits,_Z18ssm_scan_f32_groupILi4ELi128EEvPKfS1_S1_S1_S1_S1_PKiPfiiiiiiiiiiilllll,comdat
.Lfunc_end0:
	.size	_Z18ssm_scan_f32_groupILi4ELi128EEvPKfS1_S1_S1_S1_S1_PKiPfiiiiiiiiiiilllll, .Lfunc_end0-_Z18ssm_scan_f32_groupILi4ELi128EEvPKfS1_S1_S1_S1_S1_PKiPfiiiiiiiiiiilllll
                                        ; -- End function
	.section	.AMDGPU.csdata,"",@progbits
; Kernel info:
; codeLenInByte = 4944
; NumSgprs: 51
; NumVgprs: 42
; ScratchSize: 0
; MemoryBound: 0
; FloatMode: 240
; IeeeMode: 1
; LDSByteSize: 0 bytes/workgroup (compile time only)
; SGPRBlocks: 6
; VGPRBlocks: 5
; NumSGPRsForWavesPerEU: 51
; NumVGPRsForWavesPerEU: 42
; Occupancy: 16
; WaveLimiterHint : 1
; COMPUTE_PGM_RSRC2:SCRATCH_EN: 0
; COMPUTE_PGM_RSRC2:USER_SGPR: 14
; COMPUTE_PGM_RSRC2:TRAP_HANDLER: 0
; COMPUTE_PGM_RSRC2:TGID_X_EN: 1
; COMPUTE_PGM_RSRC2:TGID_Y_EN: 1
; COMPUTE_PGM_RSRC2:TGID_Z_EN: 0
; COMPUTE_PGM_RSRC2:TIDIG_COMP_CNT: 0
	.section	.text._Z18ssm_scan_f32_groupILi8ELi256EEvPKfS1_S1_S1_S1_S1_PKiPfiiiiiiiiiiilllll,"axG",@progbits,_Z18ssm_scan_f32_groupILi8ELi256EEvPKfS1_S1_S1_S1_S1_PKiPfiiiiiiiiiiilllll,comdat
	.protected	_Z18ssm_scan_f32_groupILi8ELi256EEvPKfS1_S1_S1_S1_S1_PKiPfiiiiiiiiiiilllll ; -- Begin function _Z18ssm_scan_f32_groupILi8ELi256EEvPKfS1_S1_S1_S1_S1_PKiPfiiiiiiiiiiilllll
	.globl	_Z18ssm_scan_f32_groupILi8ELi256EEvPKfS1_S1_S1_S1_S1_PKiPfiiiiiiiiiiilllll
	.p2align	8
	.type	_Z18ssm_scan_f32_groupILi8ELi256EEvPKfS1_S1_S1_S1_S1_PKiPfiiiiiiiiiiilllll,@function
_Z18ssm_scan_f32_groupILi8ELi256EEvPKfS1_S1_S1_S1_S1_PKiPfiiiiiiiiiiilllll: ; @_Z18ssm_scan_f32_groupILi8ELi256EEvPKfS1_S1_S1_S1_S1_PKiPfiiiiiiiiiiilllll
; %bb.0:
	s_load_b256 s[20:27], s[0:1], 0x70
	v_lshrrev_b32_e32 v1, 5, v0
	s_load_b64 s[44:45], s[0:1], 0x90
	v_mov_b32_e32 v3, 0
	s_mov_b32 s34, s15
	s_delay_alu instid0(VALU_DEP_2) | instskip(NEXT) | instid1(VALU_DEP_1)
	v_lshl_or_b32 v1, s14, 3, v1
	v_ashrrev_i32_e32 v2, 31, v1
	s_waitcnt lgkmcnt(0)
	s_delay_alu instid0(VALU_DEP_1) | instskip(NEXT) | instid1(VALU_DEP_1)
	v_or_b32_e32 v4, s25, v2
	v_cmp_ne_u64_e32 vcc_lo, 0, v[3:4]
                                        ; implicit-def: $vgpr3_vgpr4
	s_and_saveexec_b32 s2, vcc_lo
	s_delay_alu instid0(SALU_CYCLE_1)
	s_xor_b32 s3, exec_lo, s2
	s_cbranch_execz .LBB1_2
; %bb.1:
	s_ashr_i32 s4, s25, 31
	s_delay_alu instid0(SALU_CYCLE_1) | instskip(SKIP_2) | instid1(SALU_CYCLE_1)
	s_add_u32 s6, s24, s4
	s_mov_b32 s5, s4
	s_addc_u32 s7, s25, s4
	s_xor_b64 s[6:7], s[6:7], s[4:5]
	s_delay_alu instid0(SALU_CYCLE_1) | instskip(SKIP_3) | instid1(VALU_DEP_1)
	v_cvt_f32_u32_e32 v3, s6
	v_cvt_f32_u32_e32 v4, s7
	s_sub_u32 s2, 0, s6
	s_subb_u32 s5, 0, s7
	v_fmamk_f32 v3, v4, 0x4f800000, v3
	s_delay_alu instid0(VALU_DEP_1) | instskip(SKIP_2) | instid1(VALU_DEP_1)
	v_rcp_f32_e32 v3, v3
	s_waitcnt_depctr 0xfff
	v_mul_f32_e32 v3, 0x5f7ffffc, v3
	v_mul_f32_e32 v4, 0x2f800000, v3
	s_delay_alu instid0(VALU_DEP_1) | instskip(NEXT) | instid1(VALU_DEP_1)
	v_trunc_f32_e32 v4, v4
	v_fmamk_f32 v3, v4, 0xcf800000, v3
	v_cvt_u32_f32_e32 v4, v4
	s_delay_alu instid0(VALU_DEP_2) | instskip(NEXT) | instid1(VALU_DEP_2)
	v_cvt_u32_f32_e32 v3, v3
	v_mul_lo_u32 v5, s2, v4
	s_delay_alu instid0(VALU_DEP_2) | instskip(SKIP_1) | instid1(VALU_DEP_2)
	v_mul_hi_u32 v6, s2, v3
	v_mul_lo_u32 v7, s5, v3
	v_add_nc_u32_e32 v5, v6, v5
	v_mul_lo_u32 v6, s2, v3
	s_delay_alu instid0(VALU_DEP_2) | instskip(NEXT) | instid1(VALU_DEP_2)
	v_add_nc_u32_e32 v5, v5, v7
	v_mul_hi_u32 v7, v3, v6
	s_delay_alu instid0(VALU_DEP_2)
	v_mul_lo_u32 v8, v3, v5
	v_mul_hi_u32 v9, v3, v5
	v_mul_hi_u32 v10, v4, v6
	v_mul_lo_u32 v6, v4, v6
	v_mul_hi_u32 v11, v4, v5
	v_mul_lo_u32 v5, v4, v5
	v_add_co_u32 v7, vcc_lo, v7, v8
	v_add_co_ci_u32_e32 v8, vcc_lo, 0, v9, vcc_lo
	v_mov_b32_e32 v9, v2
	s_delay_alu instid0(VALU_DEP_3) | instskip(NEXT) | instid1(VALU_DEP_3)
	v_add_co_u32 v6, vcc_lo, v7, v6
	v_add_co_ci_u32_e32 v6, vcc_lo, v8, v10, vcc_lo
	v_add_co_ci_u32_e32 v7, vcc_lo, 0, v11, vcc_lo
	v_mov_b32_e32 v11, v2
	s_delay_alu instid0(VALU_DEP_3) | instskip(NEXT) | instid1(VALU_DEP_3)
	v_add_co_u32 v5, vcc_lo, v6, v5
	v_add_co_ci_u32_e32 v6, vcc_lo, 0, v7, vcc_lo
	s_delay_alu instid0(VALU_DEP_2) | instskip(NEXT) | instid1(VALU_DEP_2)
	v_add_co_u32 v3, vcc_lo, v3, v5
	v_add_co_ci_u32_e32 v4, vcc_lo, v4, v6, vcc_lo
	s_delay_alu instid0(VALU_DEP_2) | instskip(SKIP_1) | instid1(VALU_DEP_3)
	v_mul_hi_u32 v5, s2, v3
	v_mul_lo_u32 v7, s5, v3
	v_mul_lo_u32 v6, s2, v4
	s_delay_alu instid0(VALU_DEP_1) | instskip(SKIP_1) | instid1(VALU_DEP_2)
	v_add_nc_u32_e32 v5, v5, v6
	v_mul_lo_u32 v6, s2, v3
	v_add_nc_u32_e32 v5, v5, v7
	s_delay_alu instid0(VALU_DEP_2) | instskip(NEXT) | instid1(VALU_DEP_2)
	v_mul_hi_u32 v7, v3, v6
	v_mul_lo_u32 v8, v3, v5
	v_mul_hi_u32 v10, v3, v5
	v_mul_hi_u32 v12, v4, v6
	v_mul_lo_u32 v6, v4, v6
	v_mul_hi_u32 v13, v4, v5
	v_mul_lo_u32 v5, v4, v5
	v_add_co_u32 v7, vcc_lo, v7, v8
	v_add_co_ci_u32_e32 v8, vcc_lo, 0, v10, vcc_lo
	s_delay_alu instid0(VALU_DEP_2) | instskip(NEXT) | instid1(VALU_DEP_2)
	v_add_co_u32 v6, vcc_lo, v7, v6
	v_add_co_ci_u32_e32 v6, vcc_lo, v8, v12, vcc_lo
	v_add_co_ci_u32_e32 v7, vcc_lo, 0, v13, vcc_lo
	v_add_co_u32 v8, vcc_lo, v1, v9
	v_add_co_ci_u32_e32 v10, vcc_lo, v2, v11, vcc_lo
	s_delay_alu instid0(VALU_DEP_4) | instskip(NEXT) | instid1(VALU_DEP_4)
	v_add_co_u32 v5, vcc_lo, v6, v5
	v_add_co_ci_u32_e32 v6, vcc_lo, 0, v7, vcc_lo
	s_delay_alu instid0(VALU_DEP_4) | instskip(NEXT) | instid1(VALU_DEP_3)
	v_xor_b32_e32 v12, v8, v9
	v_add_co_u32 v7, vcc_lo, v3, v5
	s_delay_alu instid0(VALU_DEP_3) | instskip(SKIP_1) | instid1(VALU_DEP_3)
	v_add_co_ci_u32_e32 v13, vcc_lo, v4, v6, vcc_lo
	v_xor_b32_e32 v10, v10, v11
	v_mul_hi_u32 v11, v12, v7
	s_delay_alu instid0(VALU_DEP_3) | instskip(NEXT) | instid1(VALU_DEP_3)
	v_mad_u64_u32 v[3:4], null, v12, v13, 0
	v_mad_u64_u32 v[5:6], null, v10, v7, 0
	;; [unrolled: 1-line block ×3, first 2 shown]
	s_delay_alu instid0(VALU_DEP_3) | instskip(NEXT) | instid1(VALU_DEP_4)
	v_add_co_u32 v3, vcc_lo, v11, v3
	v_add_co_ci_u32_e32 v4, vcc_lo, 0, v4, vcc_lo
	s_delay_alu instid0(VALU_DEP_2) | instskip(NEXT) | instid1(VALU_DEP_2)
	v_add_co_u32 v3, vcc_lo, v3, v5
	v_add_co_ci_u32_e32 v3, vcc_lo, v4, v6, vcc_lo
	v_add_co_ci_u32_e32 v4, vcc_lo, 0, v8, vcc_lo
	s_delay_alu instid0(VALU_DEP_2) | instskip(NEXT) | instid1(VALU_DEP_2)
	v_add_co_u32 v5, vcc_lo, v3, v7
	v_add_co_ci_u32_e32 v6, vcc_lo, 0, v4, vcc_lo
	s_delay_alu instid0(VALU_DEP_2) | instskip(SKIP_1) | instid1(VALU_DEP_3)
	v_mul_lo_u32 v7, s7, v5
	v_mad_u64_u32 v[3:4], null, s6, v5, 0
	v_mul_lo_u32 v6, s6, v6
	s_delay_alu instid0(VALU_DEP_2) | instskip(NEXT) | instid1(VALU_DEP_2)
	v_sub_co_u32 v3, vcc_lo, v12, v3
	v_add3_u32 v4, v4, v6, v7
	v_add_co_u32 v7, s2, v5, 2
	s_delay_alu instid0(VALU_DEP_2) | instskip(NEXT) | instid1(VALU_DEP_1)
	v_sub_nc_u32_e32 v6, v10, v4
	v_subrev_co_ci_u32_e64 v6, s2, s7, v6, vcc_lo
	v_sub_co_u32 v8, s2, v3, s6
	v_sub_co_ci_u32_e32 v4, vcc_lo, v10, v4, vcc_lo
	s_delay_alu instid0(VALU_DEP_3) | instskip(NEXT) | instid1(VALU_DEP_3)
	v_subrev_co_ci_u32_e64 v6, s2, 0, v6, s2
	v_cmp_le_u32_e32 vcc_lo, s6, v8
	v_cndmask_b32_e64 v8, 0, -1, vcc_lo
	s_delay_alu instid0(VALU_DEP_3)
	v_cmp_le_u32_e32 vcc_lo, s7, v6
	v_cndmask_b32_e64 v10, 0, -1, vcc_lo
	v_cmp_le_u32_e32 vcc_lo, s6, v3
	v_cndmask_b32_e64 v3, 0, -1, vcc_lo
	;; [unrolled: 2-line block ×3, first 2 shown]
	v_cmp_eq_u32_e32 vcc_lo, s7, v6
	v_cndmask_b32_e32 v6, v10, v8, vcc_lo
	v_add_co_u32 v8, vcc_lo, v5, 1
	v_cmp_eq_u32_e32 vcc_lo, s7, v4
	v_cndmask_b32_e32 v3, v11, v3, vcc_lo
	s_delay_alu instid0(VALU_DEP_4) | instskip(NEXT) | instid1(VALU_DEP_4)
	v_cmp_ne_u32_e32 vcc_lo, 0, v6
	v_cndmask_b32_e32 v4, v8, v7, vcc_lo
	s_delay_alu instid0(VALU_DEP_3) | instskip(NEXT) | instid1(VALU_DEP_2)
	v_cmp_ne_u32_e32 vcc_lo, 0, v3
	v_cndmask_b32_e32 v3, v5, v4, vcc_lo
	v_xor_b32_e32 v4, s4, v9
	s_delay_alu instid0(VALU_DEP_1) | instskip(NEXT) | instid1(VALU_DEP_1)
	v_xor_b32_e32 v3, v3, v4
	v_sub_co_u32 v3, vcc_lo, v3, v4
.LBB1_2:
	s_and_not1_saveexec_b32 s2, s3
	s_cbranch_execz .LBB1_4
; %bb.3:
	v_cvt_f32_u32_e32 v3, s24
	s_sub_i32 s3, 0, s24
	s_delay_alu instid0(VALU_DEP_1) | instskip(SKIP_2) | instid1(VALU_DEP_1)
	v_rcp_iflag_f32_e32 v3, v3
	s_waitcnt_depctr 0xfff
	v_mul_f32_e32 v3, 0x4f7ffffe, v3
	v_cvt_u32_f32_e32 v3, v3
	s_delay_alu instid0(VALU_DEP_1) | instskip(NEXT) | instid1(VALU_DEP_1)
	v_mul_lo_u32 v4, s3, v3
	v_mul_hi_u32 v4, v3, v4
	s_delay_alu instid0(VALU_DEP_1) | instskip(NEXT) | instid1(VALU_DEP_1)
	v_add_nc_u32_e32 v3, v3, v4
	v_mul_hi_u32 v3, v1, v3
	s_delay_alu instid0(VALU_DEP_1) | instskip(SKIP_1) | instid1(VALU_DEP_2)
	v_mul_lo_u32 v4, v3, s24
	v_add_nc_u32_e32 v5, 1, v3
	v_sub_nc_u32_e32 v4, v1, v4
	s_delay_alu instid0(VALU_DEP_1) | instskip(SKIP_1) | instid1(VALU_DEP_2)
	v_subrev_nc_u32_e32 v6, s24, v4
	v_cmp_le_u32_e32 vcc_lo, s24, v4
	v_dual_cndmask_b32 v4, v4, v6 :: v_dual_cndmask_b32 v3, v3, v5
	s_delay_alu instid0(VALU_DEP_1) | instskip(NEXT) | instid1(VALU_DEP_2)
	v_cmp_le_u32_e32 vcc_lo, s24, v4
	v_add_nc_u32_e32 v5, 1, v3
	s_delay_alu instid0(VALU_DEP_1)
	v_cndmask_b32_e32 v3, v3, v5, vcc_lo
.LBB1_4:
	s_or_b32 exec_lo, exec_lo, s2
	s_clause 0x1
	s_load_b512 s[4:19], s[0:1], 0x0
	s_load_b256 s[36:43], s[0:1], 0x40
	s_ashr_i32 s35, s34, 31
	v_mul_lo_u32 v4, v3, s24
	s_lshl_b64 s[2:3], s[34:35], 2
	v_and_b32_e32 v21, 31, v0
	s_delay_alu instid0(VALU_DEP_1) | instskip(NEXT) | instid1(VALU_DEP_3)
	v_lshlrev_b32_e32 v12, 2, v21
	v_sub_nc_u32_e32 v4, v1, v4
	s_delay_alu instid0(VALU_DEP_1)
	v_lshlrev_b32_e32 v9, 10, v4
	s_waitcnt lgkmcnt(0)
	s_add_u32 s2, s16, s2
	s_addc_u32 s3, s17, s3
	v_mul_lo_u32 v8, v3, s36
	s_load_b32 s2, s[2:3], 0x0
	v_ashrrev_i32_e32 v10, 31, v9
	s_delay_alu instid0(VALU_DEP_2) | instskip(SKIP_2) | instid1(SALU_CYCLE_1)
	v_ashrrev_i32_e32 v11, 31, v8
	s_waitcnt lgkmcnt(0)
	s_mul_i32 s2, s2, s37
	s_ashr_i32 s3, s2, 31
	s_add_u32 s2, s4, s2
	s_addc_u32 s3, s5, s3
	v_add_co_u32 v0, vcc_lo, s2, v8
	v_add_co_ci_u32_e32 v4, vcc_lo, s3, v11, vcc_lo
	v_cmp_lt_i64_e64 s2, s[44:45], 1
	s_delay_alu instid0(VALU_DEP_3) | instskip(NEXT) | instid1(VALU_DEP_3)
	v_add_co_u32 v0, vcc_lo, v0, v9
	v_add_co_ci_u32_e32 v5, vcc_lo, v4, v10, vcc_lo
	s_delay_alu instid0(VALU_DEP_2) | instskip(NEXT) | instid1(VALU_DEP_2)
	v_add_co_u32 v4, vcc_lo, v0, v12
	v_add_co_ci_u32_e32 v5, vcc_lo, 0, v5, vcc_lo
	s_and_b32 vcc_lo, exec_lo, s2
	s_mov_b32 s2, 0
	s_clause 0x7
	global_load_b32 v13, v[4:5], off
	global_load_b32 v15, v[4:5], off offset:128
	global_load_b32 v16, v[4:5], off offset:256
	;; [unrolled: 1-line block ×7, first 2 shown]
	s_cbranch_vccnz .LBB1_19
; %bb.5:
	s_or_b64 s[4:5], s[22:23], s[26:27]
	s_delay_alu instid0(SALU_CYCLE_1) | instskip(NEXT) | instid1(SALU_CYCLE_1)
	s_mov_b32 s3, s5
	s_cmp_lg_u64 s[2:3], 0
	s_cbranch_scc0 .LBB1_21
; %bb.6:
	s_ashr_i32 s2, s27, 31
	s_delay_alu instid0(SALU_CYCLE_1) | instskip(SKIP_2) | instid1(SALU_CYCLE_1)
	s_add_u32 s4, s26, s2
	s_mov_b32 s3, s2
	s_addc_u32 s5, s27, s2
	s_xor_b64 s[4:5], s[4:5], s[2:3]
	s_delay_alu instid0(SALU_CYCLE_1) | instskip(SKIP_3) | instid1(VALU_DEP_1)
	v_cvt_f32_u32_e32 v0, s4
	v_cvt_f32_u32_e32 v4, s5
	s_sub_u32 s27, 0, s4
	s_subb_u32 s28, 0, s5
	v_fmamk_f32 v0, v4, 0x4f800000, v0
	s_delay_alu instid0(VALU_DEP_1) | instskip(SKIP_2) | instid1(VALU_DEP_1)
	v_rcp_f32_e32 v0, v0
	s_waitcnt_depctr 0xfff
	v_mul_f32_e32 v0, 0x5f7ffffc, v0
	v_mul_f32_e32 v4, 0x2f800000, v0
	s_delay_alu instid0(VALU_DEP_1) | instskip(NEXT) | instid1(VALU_DEP_1)
	v_trunc_f32_e32 v4, v4
	v_fmamk_f32 v0, v4, 0xcf800000, v0
	v_cvt_u32_f32_e32 v4, v4
	s_delay_alu instid0(VALU_DEP_2) | instskip(NEXT) | instid1(VALU_DEP_2)
	v_cvt_u32_f32_e32 v0, v0
	v_readfirstlane_b32 s16, v4
	s_delay_alu instid0(VALU_DEP_2) | instskip(NEXT) | instid1(VALU_DEP_2)
	v_readfirstlane_b32 s17, v0
	s_mul_i32 s29, s27, s16
	s_delay_alu instid0(VALU_DEP_1)
	s_mul_hi_u32 s31, s27, s17
	s_mul_i32 s30, s28, s17
	s_add_i32 s29, s31, s29
	s_mul_i32 s33, s27, s17
	s_add_i32 s29, s29, s30
	s_mul_hi_u32 s31, s17, s33
	s_mul_hi_u32 s36, s16, s33
	s_mul_i32 s30, s16, s33
	s_mul_hi_u32 s33, s17, s29
	s_mul_i32 s17, s17, s29
	s_mul_hi_u32 s46, s16, s29
	s_add_u32 s17, s31, s17
	s_addc_u32 s31, 0, s33
	s_add_u32 s17, s17, s30
	s_mul_i32 s29, s16, s29
	s_addc_u32 s17, s31, s36
	s_addc_u32 s30, s46, 0
	s_add_u32 s17, s17, s29
	s_addc_u32 s29, 0, s30
	v_add_co_u32 v0, s17, v0, s17
	s_delay_alu instid0(VALU_DEP_1) | instskip(SKIP_1) | instid1(VALU_DEP_1)
	s_cmp_lg_u32 s17, 0
	s_addc_u32 s16, s16, s29
	v_readfirstlane_b32 s17, v0
	s_mul_i32 s29, s27, s16
	s_delay_alu instid0(VALU_DEP_1)
	s_mul_hi_u32 s30, s27, s17
	s_mul_i32 s28, s28, s17
	s_add_i32 s29, s30, s29
	s_mul_i32 s27, s27, s17
	s_add_i32 s29, s29, s28
	s_mul_hi_u32 s30, s16, s27
	s_mul_i32 s31, s16, s27
	s_mul_hi_u32 s27, s17, s27
	s_mul_hi_u32 s33, s17, s29
	s_mul_i32 s17, s17, s29
	s_mul_hi_u32 s28, s16, s29
	s_add_u32 s17, s27, s17
	s_addc_u32 s27, 0, s33
	s_add_u32 s17, s17, s31
	s_mul_i32 s29, s16, s29
	s_addc_u32 s17, s27, s30
	s_addc_u32 s27, s28, 0
	s_add_u32 s17, s17, s29
	s_addc_u32 s27, 0, s27
	v_add_co_u32 v0, s17, v0, s17
	s_delay_alu instid0(VALU_DEP_1) | instskip(SKIP_2) | instid1(VALU_DEP_1)
	s_cmp_lg_u32 s17, 0
	s_addc_u32 s27, s16, s27
	s_ashr_i32 s16, s23, 31
	v_readfirstlane_b32 s30, v0
	s_add_u32 s28, s22, s16
	s_mov_b32 s17, s16
	s_addc_u32 s29, s23, s16
	s_delay_alu instid0(SALU_CYCLE_1) | instskip(NEXT) | instid1(SALU_CYCLE_1)
	s_xor_b64 s[28:29], s[28:29], s[16:17]
	s_mul_i32 s33, s28, s27
	s_mul_hi_u32 s36, s28, s30
	s_mul_hi_u32 s31, s28, s27
	;; [unrolled: 1-line block ×3, first 2 shown]
	s_mul_i32 s30, s29, s30
	s_add_u32 s33, s36, s33
	s_addc_u32 s31, 0, s31
	s_mul_hi_u32 s46, s29, s27
	s_add_u32 s30, s33, s30
	s_mul_i32 s27, s29, s27
	s_addc_u32 s30, s31, s47
	s_addc_u32 s31, s46, 0
	s_add_u32 s27, s30, s27
	s_addc_u32 s30, 0, s31
	s_mul_i32 s46, s4, s27
	s_mul_hi_u32 s31, s4, s27
	s_mul_i32 s36, s4, s30
	v_sub_co_u32 v0, s28, s28, s46
	s_mul_i32 s33, s5, s27
	s_add_i32 s31, s31, s36
	s_delay_alu instid0(SALU_CYCLE_1) | instskip(NEXT) | instid1(VALU_DEP_1)
	s_add_i32 s31, s31, s33
	v_sub_co_u32 v4, s36, v0, s4
	s_sub_i32 s33, s29, s31
	s_cmp_lg_u32 s28, 0
	s_subb_u32 s33, s33, s5
	s_cmp_lg_u32 s36, 0
	v_readfirstlane_b32 s36, v4
	s_subb_u32 s33, s33, 0
	s_delay_alu instid0(SALU_CYCLE_1) | instskip(SKIP_1) | instid1(VALU_DEP_1)
	s_cmp_ge_u32 s33, s5
	s_cselect_b32 s46, -1, 0
	s_cmp_ge_u32 s36, s4
	s_cselect_b32 s36, -1, 0
	s_cmp_eq_u32 s33, s5
	s_cselect_b32 s33, s36, s46
	s_add_u32 s36, s27, 1
	s_addc_u32 s46, s30, 0
	s_add_u32 s47, s27, 2
	s_addc_u32 s48, s30, 0
	s_cmp_lg_u32 s33, 0
	s_cselect_b32 s33, s47, s36
	s_cselect_b32 s36, s48, s46
	s_cmp_lg_u32 s28, 0
	v_readfirstlane_b32 s28, v0
	s_subb_u32 s29, s29, s31
	s_delay_alu instid0(SALU_CYCLE_1) | instskip(SKIP_1) | instid1(VALU_DEP_1)
	s_cmp_ge_u32 s29, s5
	s_cselect_b32 s31, -1, 0
	s_cmp_ge_u32 s28, s4
	s_cselect_b32 s4, -1, 0
	s_cmp_eq_u32 s29, s5
	s_cselect_b32 s4, s4, s31
	s_delay_alu instid0(SALU_CYCLE_1) | instskip(SKIP_3) | instid1(SALU_CYCLE_1)
	s_cmp_lg_u32 s4, 0
	s_cselect_b32 s5, s36, s30
	s_cselect_b32 s4, s33, s27
	s_xor_b64 s[2:3], s[16:17], s[2:3]
	s_xor_b64 s[16:17], s[4:5], s[2:3]
	s_delay_alu instid0(SALU_CYCLE_1)
	s_sub_u32 s2, s16, s2
	s_subb_u32 s3, s17, s3
	s_load_b128 s[28:31], s[0:1], 0x60
	s_cbranch_execnz .LBB1_8
.LBB1_7:
	v_cvt_f32_u32_e32 v0, s26
	s_sub_i32 s1, 0, s26
	s_delay_alu instid0(VALU_DEP_1) | instskip(SKIP_2) | instid1(VALU_DEP_1)
	v_rcp_iflag_f32_e32 v0, v0
	s_waitcnt_depctr 0xfff
	v_mul_f32_e32 v0, 0x4f7ffffe, v0
	v_cvt_u32_f32_e32 v0, v0
	s_delay_alu instid0(VALU_DEP_1) | instskip(NEXT) | instid1(VALU_DEP_1)
	v_readfirstlane_b32 s0, v0
	s_mul_i32 s1, s1, s0
	s_delay_alu instid0(SALU_CYCLE_1) | instskip(NEXT) | instid1(SALU_CYCLE_1)
	s_mul_hi_u32 s1, s0, s1
	s_add_i32 s0, s0, s1
	s_delay_alu instid0(SALU_CYCLE_1) | instskip(NEXT) | instid1(SALU_CYCLE_1)
	s_mul_hi_u32 s0, s22, s0
	s_mul_i32 s1, s0, s26
	s_add_i32 s2, s0, 1
	s_sub_i32 s1, s22, s1
	s_delay_alu instid0(SALU_CYCLE_1)
	s_sub_i32 s3, s1, s26
	s_cmp_ge_u32 s1, s26
	s_cselect_b32 s0, s2, s0
	s_cselect_b32 s1, s3, s1
	s_add_i32 s2, s0, 1
	s_cmp_ge_u32 s1, s26
	s_mov_b32 s3, 0
	s_cselect_b32 s2, s2, s0
.LBB1_8:
	v_ashrrev_i32_e32 v0, 31, v3
	v_mov_b32_e32 v4, 0
                                        ; implicit-def: $vgpr6_vgpr7
	s_mov_b32 s0, exec_lo
	s_delay_alu instid0(VALU_DEP_2) | instskip(NEXT) | instid1(VALU_DEP_1)
	v_or_b32_e32 v5, s3, v0
	v_cmpx_ne_u64_e32 0, v[4:5]
	s_xor_b32 s1, exec_lo, s0
	s_cbranch_execz .LBB1_10
; %bb.9:
	s_ashr_i32 s4, s3, 31
	s_delay_alu instid0(SALU_CYCLE_1) | instskip(SKIP_2) | instid1(SALU_CYCLE_1)
	s_add_u32 s16, s2, s4
	s_mov_b32 s5, s4
	s_addc_u32 s17, s3, s4
	s_xor_b64 s[16:17], s[16:17], s[4:5]
	s_delay_alu instid0(SALU_CYCLE_1) | instskip(SKIP_3) | instid1(VALU_DEP_1)
	v_cvt_f32_u32_e32 v5, s16
	v_cvt_f32_u32_e32 v6, s17
	s_sub_u32 s0, 0, s16
	s_subb_u32 s3, 0, s17
	v_fmamk_f32 v5, v6, 0x4f800000, v5
	s_delay_alu instid0(VALU_DEP_1) | instskip(SKIP_2) | instid1(VALU_DEP_1)
	v_rcp_f32_e32 v5, v5
	s_waitcnt_depctr 0xfff
	v_mul_f32_e32 v5, 0x5f7ffffc, v5
	v_mul_f32_e32 v6, 0x2f800000, v5
	s_delay_alu instid0(VALU_DEP_1) | instskip(NEXT) | instid1(VALU_DEP_1)
	v_trunc_f32_e32 v6, v6
	v_fmamk_f32 v5, v6, 0xcf800000, v5
	v_cvt_u32_f32_e32 v6, v6
	s_delay_alu instid0(VALU_DEP_2) | instskip(NEXT) | instid1(VALU_DEP_2)
	v_cvt_u32_f32_e32 v5, v5
	v_mul_lo_u32 v7, s0, v6
	s_delay_alu instid0(VALU_DEP_2) | instskip(SKIP_1) | instid1(VALU_DEP_2)
	v_mul_hi_u32 v22, s0, v5
	v_mul_lo_u32 v23, s3, v5
	v_add_nc_u32_e32 v7, v22, v7
	v_mul_lo_u32 v22, s0, v5
	s_delay_alu instid0(VALU_DEP_2) | instskip(NEXT) | instid1(VALU_DEP_2)
	v_add_nc_u32_e32 v7, v7, v23
	v_mul_hi_u32 v23, v5, v22
	s_delay_alu instid0(VALU_DEP_2)
	v_mul_lo_u32 v24, v5, v7
	v_mul_hi_u32 v25, v5, v7
	v_mul_hi_u32 v26, v6, v22
	v_mul_lo_u32 v22, v6, v22
	v_mul_hi_u32 v27, v6, v7
	v_mul_lo_u32 v7, v6, v7
	v_add_co_u32 v23, vcc_lo, v23, v24
	v_add_co_ci_u32_e32 v24, vcc_lo, 0, v25, vcc_lo
	s_delay_alu instid0(VALU_DEP_2) | instskip(NEXT) | instid1(VALU_DEP_2)
	v_add_co_u32 v22, vcc_lo, v23, v22
	v_add_co_ci_u32_e32 v22, vcc_lo, v24, v26, vcc_lo
	v_add_co_ci_u32_e32 v23, vcc_lo, 0, v27, vcc_lo
	v_mov_b32_e32 v26, v0
	s_delay_alu instid0(VALU_DEP_3) | instskip(NEXT) | instid1(VALU_DEP_3)
	v_add_co_u32 v7, vcc_lo, v22, v7
	v_add_co_ci_u32_e32 v22, vcc_lo, 0, v23, vcc_lo
	v_mov_b32_e32 v27, v0
	s_delay_alu instid0(VALU_DEP_3) | instskip(NEXT) | instid1(VALU_DEP_3)
	v_add_co_u32 v5, vcc_lo, v5, v7
	v_add_co_ci_u32_e32 v6, vcc_lo, v6, v22, vcc_lo
	s_delay_alu instid0(VALU_DEP_2) | instskip(SKIP_1) | instid1(VALU_DEP_3)
	v_mul_hi_u32 v7, s0, v5
	v_mul_lo_u32 v23, s3, v5
	v_mul_lo_u32 v22, s0, v6
	s_delay_alu instid0(VALU_DEP_1) | instskip(SKIP_1) | instid1(VALU_DEP_2)
	v_add_nc_u32_e32 v7, v7, v22
	v_mul_lo_u32 v22, s0, v5
	v_add_nc_u32_e32 v7, v7, v23
	s_delay_alu instid0(VALU_DEP_2) | instskip(NEXT) | instid1(VALU_DEP_2)
	v_mul_hi_u32 v23, v5, v22
	v_mul_lo_u32 v24, v5, v7
	v_mul_hi_u32 v25, v5, v7
	v_mul_hi_u32 v28, v6, v22
	v_mul_lo_u32 v22, v6, v22
	v_mul_hi_u32 v29, v6, v7
	v_mul_lo_u32 v7, v6, v7
	v_add_co_u32 v23, vcc_lo, v23, v24
	v_add_co_ci_u32_e32 v24, vcc_lo, 0, v25, vcc_lo
	s_delay_alu instid0(VALU_DEP_2) | instskip(NEXT) | instid1(VALU_DEP_2)
	v_add_co_u32 v22, vcc_lo, v23, v22
	v_add_co_ci_u32_e32 v22, vcc_lo, v24, v28, vcc_lo
	v_add_co_ci_u32_e32 v23, vcc_lo, 0, v29, vcc_lo
	v_add_co_u32 v24, vcc_lo, v3, v26
	v_add_co_ci_u32_e32 v0, vcc_lo, v0, v27, vcc_lo
	s_delay_alu instid0(VALU_DEP_4) | instskip(NEXT) | instid1(VALU_DEP_4)
	v_add_co_u32 v7, vcc_lo, v22, v7
	v_add_co_ci_u32_e32 v22, vcc_lo, 0, v23, vcc_lo
	s_delay_alu instid0(VALU_DEP_4) | instskip(NEXT) | instid1(VALU_DEP_3)
	v_xor_b32_e32 v28, v24, v26
	v_add_co_u32 v7, vcc_lo, v5, v7
	s_delay_alu instid0(VALU_DEP_3) | instskip(SKIP_1) | instid1(VALU_DEP_3)
	v_add_co_ci_u32_e32 v29, vcc_lo, v6, v22, vcc_lo
	v_xor_b32_e32 v0, v0, v27
	v_mul_hi_u32 v27, v28, v7
	s_delay_alu instid0(VALU_DEP_3) | instskip(NEXT) | instid1(VALU_DEP_3)
	v_mad_u64_u32 v[5:6], null, v28, v29, 0
	v_mad_u64_u32 v[22:23], null, v0, v7, 0
	;; [unrolled: 1-line block ×3, first 2 shown]
	s_delay_alu instid0(VALU_DEP_3) | instskip(NEXT) | instid1(VALU_DEP_4)
	v_add_co_u32 v5, vcc_lo, v27, v5
	v_add_co_ci_u32_e32 v6, vcc_lo, 0, v6, vcc_lo
	s_delay_alu instid0(VALU_DEP_2) | instskip(NEXT) | instid1(VALU_DEP_2)
	v_add_co_u32 v5, vcc_lo, v5, v22
	v_add_co_ci_u32_e32 v5, vcc_lo, v6, v23, vcc_lo
	v_add_co_ci_u32_e32 v6, vcc_lo, 0, v25, vcc_lo
	s_delay_alu instid0(VALU_DEP_2) | instskip(NEXT) | instid1(VALU_DEP_2)
	v_add_co_u32 v7, vcc_lo, v5, v24
	v_add_co_ci_u32_e32 v22, vcc_lo, 0, v6, vcc_lo
	s_delay_alu instid0(VALU_DEP_2) | instskip(SKIP_1) | instid1(VALU_DEP_3)
	v_mul_lo_u32 v23, s17, v7
	v_mad_u64_u32 v[5:6], null, s16, v7, 0
	v_mul_lo_u32 v22, s16, v22
	s_delay_alu instid0(VALU_DEP_2) | instskip(NEXT) | instid1(VALU_DEP_2)
	v_sub_co_u32 v5, vcc_lo, v28, v5
	v_add3_u32 v6, v6, v22, v23
	v_add_co_u32 v23, s0, v7, 2
	s_delay_alu instid0(VALU_DEP_2) | instskip(NEXT) | instid1(VALU_DEP_1)
	v_sub_nc_u32_e32 v22, v0, v6
	v_subrev_co_ci_u32_e64 v22, s0, s17, v22, vcc_lo
	v_sub_co_u32 v24, s0, v5, s16
	v_sub_co_ci_u32_e32 v0, vcc_lo, v0, v6, vcc_lo
	s_delay_alu instid0(VALU_DEP_3) | instskip(NEXT) | instid1(VALU_DEP_3)
	v_subrev_co_ci_u32_e64 v22, s0, 0, v22, s0
	v_cmp_le_u32_e32 vcc_lo, s16, v24
	v_cndmask_b32_e64 v6, 0, -1, vcc_lo
	s_delay_alu instid0(VALU_DEP_3)
	v_cmp_le_u32_e32 vcc_lo, s17, v22
	v_cndmask_b32_e64 v24, 0, -1, vcc_lo
	v_cmp_le_u32_e32 vcc_lo, s16, v5
	v_cndmask_b32_e64 v5, 0, -1, vcc_lo
	;; [unrolled: 2-line block ×3, first 2 shown]
	v_cmp_eq_u32_e32 vcc_lo, s17, v22
	v_cndmask_b32_e32 v6, v24, v6, vcc_lo
	v_add_co_u32 v22, vcc_lo, v7, 1
	v_cmp_eq_u32_e32 vcc_lo, s17, v0
	v_cndmask_b32_e32 v0, v25, v5, vcc_lo
	s_delay_alu instid0(VALU_DEP_4) | instskip(NEXT) | instid1(VALU_DEP_4)
	v_cmp_ne_u32_e32 vcc_lo, 0, v6
	v_cndmask_b32_e32 v5, v22, v23, vcc_lo
	s_delay_alu instid0(VALU_DEP_3) | instskip(NEXT) | instid1(VALU_DEP_2)
	v_cmp_ne_u32_e32 vcc_lo, 0, v0
	v_cndmask_b32_e32 v0, v7, v5, vcc_lo
	v_xor_b32_e32 v5, s4, v26
	s_delay_alu instid0(VALU_DEP_1) | instskip(NEXT) | instid1(VALU_DEP_1)
	v_xor_b32_e32 v0, v0, v5
	v_sub_co_u32 v6, vcc_lo, v0, v5
.LBB1_10:
	s_or_saveexec_b32 s0, s1
	v_mov_b32_e32 v5, v3
	s_xor_b32 exec_lo, exec_lo, s0
	s_cbranch_execz .LBB1_12
; %bb.11:
	v_cvt_f32_u32_e32 v0, s2
	s_sub_i32 s1, 0, s2
	s_delay_alu instid0(VALU_DEP_1) | instskip(SKIP_2) | instid1(VALU_DEP_1)
	v_rcp_iflag_f32_e32 v0, v0
	s_waitcnt_depctr 0xfff
	v_mul_f32_e32 v0, 0x4f7ffffe, v0
	v_cvt_u32_f32_e32 v0, v0
	s_delay_alu instid0(VALU_DEP_1) | instskip(NEXT) | instid1(VALU_DEP_1)
	v_mul_lo_u32 v6, s1, v0
	v_mul_hi_u32 v6, v0, v6
	s_delay_alu instid0(VALU_DEP_1) | instskip(NEXT) | instid1(VALU_DEP_1)
	v_add_nc_u32_e32 v0, v0, v6
	v_mul_hi_u32 v0, v5, v0
	s_delay_alu instid0(VALU_DEP_1) | instskip(NEXT) | instid1(VALU_DEP_1)
	v_mul_lo_u32 v6, v0, s2
	v_sub_nc_u32_e32 v6, v5, v6
	s_delay_alu instid0(VALU_DEP_1) | instskip(SKIP_1) | instid1(VALU_DEP_2)
	v_subrev_nc_u32_e32 v22, s2, v6
	v_cmp_le_u32_e32 vcc_lo, s2, v6
	v_dual_cndmask_b32 v6, v6, v22 :: v_dual_add_nc_u32 v7, 1, v0
	s_delay_alu instid0(VALU_DEP_1) | instskip(NEXT) | instid1(VALU_DEP_2)
	v_cndmask_b32_e32 v0, v0, v7, vcc_lo
	v_cmp_le_u32_e32 vcc_lo, s2, v6
	s_delay_alu instid0(VALU_DEP_2) | instskip(NEXT) | instid1(VALU_DEP_1)
	v_add_nc_u32_e32 v7, 1, v0
	v_cndmask_b32_e32 v6, v0, v7, vcc_lo
.LBB1_12:
	s_or_b32 exec_lo, exec_lo, s0
	s_mul_i32 s2, s24, s23
	s_mul_hi_u32 s4, s24, s22
	s_mul_i32 s5, s25, s22
	s_add_i32 s4, s4, s2
	s_mul_i32 s2, s24, s22
	s_add_i32 s4, s4, s5
	s_mul_i32 s22, s2, s35
	s_mul_hi_u32 s23, s2, s34
	s_mul_i32 s4, s4, s34
	s_add_i32 s5, s23, s22
	s_mul_i32 s22, s2, s34
	s_add_i32 s4, s5, s4
	s_mul_i32 s5, s22, s45
	s_mul_hi_u32 s23, s22, s44
	s_mul_i32 s4, s4, s44
	s_add_i32 s5, s23, s5
	s_waitcnt lgkmcnt(0)
	s_mul_i32 s26, s34, s30
	s_add_i32 s5, s5, s4
	s_mul_i32 s4, s22, s44
	s_mul_i32 s1, s34, s39
	;; [unrolled: 1-line block ×3, first 2 shown]
	v_lshlrev_b64 v[23:24], 2, v[1:2]
	s_lshl_b64 s[4:5], s[4:5], 2
	s_ashr_i32 s0, s43, 2
	s_ashr_i32 s16, s38, 2
	;; [unrolled: 1-line block ×4, first 2 shown]
	v_mul_lo_u32 v7, v3, s42
	s_ashr_i32 s23, s17, 31
	s_add_u32 s4, s18, s4
	v_ashrrev_i64 v[2:3], 30, v[4:5]
	s_addc_u32 s5, s19, s5
	s_add_u32 s1, s6, s1
	s_addc_u32 s3, s7, s3
	v_add_co_u32 v0, vcc_lo, s1, v23
	s_add_u32 s1, s8, s17
	v_add_co_ci_u32_e32 v1, vcc_lo, s3, v24, vcc_lo
	v_ashrrev_i32_e32 v5, 31, v7
	s_addc_u32 s3, s9, s23
	v_add_co_u32 v2, vcc_lo, s1, v2
	v_add_co_ci_u32_e32 v3, vcc_lo, s3, v3, vcc_lo
	v_add_co_u32 v4, vcc_lo, s10, v7
	v_add_co_ci_u32_e32 v5, vcc_lo, s11, v5, vcc_lo
	v_lshlrev_b32_e32 v22, 10, v6
	v_add_co_u32 v6, vcc_lo, s4, v23
	v_add_co_ci_u32_e32 v7, vcc_lo, s5, v24, vcc_lo
	v_mbcnt_lo_u32_b32 v24, -1, 0
	s_ashr_i32 s4, s40, 2
	s_mul_i32 s8, s34, s28
	s_ashr_i32 s10, s29, 2
	s_ashr_i32 s5, s4, 31
	v_xor_b32_e32 v25, 16, v24
	v_xor_b32_e32 v26, 8, v24
	;; [unrolled: 1-line block ×5, first 2 shown]
	v_cmp_gt_i32_e32 vcc_lo, 32, v25
	s_ashr_i32 s17, s16, 31
	s_bfe_i64 s[2:3], s[2:3], 0x200000
	s_ashr_i32 s9, s8, 31
	s_ashr_i32 s1, s0, 31
	v_cndmask_b32_e32 v25, v24, v25, vcc_lo
	v_cmp_gt_i32_e32 vcc_lo, 32, v26
	s_ashr_i32 s11, s10, 31
	s_lshl_b64 s[2:3], s[2:3], 2
	s_lshl_b64 s[4:5], s[4:5], 2
	;; [unrolled: 1-line block ×3, first 2 shown]
	v_cndmask_b32_e32 v26, v24, v26, vcc_lo
	v_cmp_gt_i32_e32 vcc_lo, 32, v27
	s_add_u32 s8, s12, s8
	s_addc_u32 s9, s13, s9
	v_ashrrev_i32_e32 v23, 31, v22
	s_mov_b32 s12, 0x3e9b6dac
	v_cndmask_b32_e32 v27, v24, v27, vcc_lo
	v_cmp_gt_i32_e32 vcc_lo, 32, v28
	v_cndmask_b32_e32 v28, v24, v28, vcc_lo
	v_cmp_gt_i32_e32 vcc_lo, 32, v29
	v_cndmask_b32_e32 v29, v24, v29, vcc_lo
	v_cmp_eq_u32_e32 vcc_lo, 0, v21
	v_add_co_u32 v21, s8, s8, v12
	v_lshlrev_b32_e32 v24, 2, v25
	v_lshlrev_b32_e32 v25, 2, v26
	;; [unrolled: 1-line block ×5, first 2 shown]
	v_add_co_ci_u32_e64 v29, null, s9, 0, s8
	s_lshl_b64 s[8:9], s[0:1], 2
	s_add_u32 s0, s14, s26
	s_addc_u32 s1, s15, s27
	v_add_co_u32 v30, s0, s0, v12
	s_delay_alu instid0(VALU_DEP_1)
	v_add_co_ci_u32_e64 v31, null, s1, 0, s0
	s_lshl_b64 s[10:11], s[10:11], 2
.LBB1_13:                               ; =>This Inner Loop Header: Depth=1
	global_load_b32 v32, v[2:3], off
	s_mov_b32 s13, exec_lo
	s_waitcnt vmcnt(0)
	v_cmpx_ge_f32_e32 0x41a00000, v32
	s_cbranch_execz .LBB1_15
; %bb.14:                               ;   in Loop: Header=BB1_13 Depth=1
	v_mul_f32_e32 v33, 0x3fb8aa3b, v32
	v_cmp_ngt_f32_e64 s0, 0xc2ce8ed0, v32
	s_delay_alu instid0(VALU_DEP_2) | instskip(SKIP_1) | instid1(VALU_DEP_2)
	v_rndne_f32_e32 v34, v33
	v_fma_f32 v35, 0x3fb8aa3b, v32, -v33
	v_sub_f32_e32 v33, v33, v34
	s_delay_alu instid0(VALU_DEP_2) | instskip(SKIP_1) | instid1(VALU_DEP_2)
	v_fmac_f32_e32 v35, 0x32a5705f, v32
	v_cvt_i32_f32_e32 v34, v34
	v_add_f32_e32 v33, v33, v35
	s_delay_alu instid0(VALU_DEP_1) | instskip(SKIP_2) | instid1(VALU_DEP_1)
	v_exp_f32_e32 v33, v33
	s_waitcnt_depctr 0xfff
	v_ldexp_f32 v33, v33, v34
	v_cndmask_b32_e64 v33, 0, v33, s0
	v_cmp_nlt_f32_e64 s0, 0x42b17218, v32
	s_delay_alu instid0(VALU_DEP_1) | instskip(NEXT) | instid1(VALU_DEP_1)
	v_cndmask_b32_e64 v34, 0x7f800000, v33, s0
	v_add_f32_e32 v35, 1.0, v34
	v_cmp_gt_f32_e64 s1, 0x33800000, v34
	s_delay_alu instid0(VALU_DEP_2) | instskip(NEXT) | instid1(VALU_DEP_1)
	v_cvt_f64_f32_e32 v[32:33], v35
	v_frexp_exp_i32_f64_e32 v32, v[32:33]
	v_frexp_mant_f32_e32 v33, v35
	s_delay_alu instid0(VALU_DEP_1) | instskip(SKIP_1) | instid1(VALU_DEP_1)
	v_cmp_gt_f32_e64 s0, 0x3f2aaaab, v33
	v_add_f32_e32 v33, -1.0, v35
	v_sub_f32_e32 v37, v33, v35
	v_sub_f32_e32 v33, v34, v33
	s_delay_alu instid0(VALU_DEP_2) | instskip(NEXT) | instid1(VALU_DEP_1)
	v_add_f32_e32 v37, 1.0, v37
	v_add_f32_e32 v33, v33, v37
	v_subrev_co_ci_u32_e64 v32, s0, 0, v32, s0
	v_cmp_eq_f32_e64 s0, 0x7f800000, v34
	s_delay_alu instid0(VALU_DEP_2) | instskip(SKIP_1) | instid1(VALU_DEP_3)
	v_sub_nc_u32_e32 v36, 0, v32
	v_cvt_f32_i32_e32 v32, v32
	s_or_b32 s0, s1, s0
	s_delay_alu instid0(VALU_DEP_2) | instskip(SKIP_1) | instid1(VALU_DEP_2)
	v_ldexp_f32 v35, v35, v36
	v_ldexp_f32 v33, v33, v36
	v_add_f32_e32 v38, 1.0, v35
	s_delay_alu instid0(VALU_DEP_1) | instskip(NEXT) | instid1(VALU_DEP_1)
	v_dual_add_f32 v36, -1.0, v35 :: v_dual_add_f32 v37, -1.0, v38
	v_add_f32_e32 v39, 1.0, v36
	s_delay_alu instid0(VALU_DEP_2) | instskip(NEXT) | instid1(VALU_DEP_2)
	v_sub_f32_e32 v37, v35, v37
	v_sub_f32_e32 v35, v35, v39
	s_delay_alu instid0(VALU_DEP_2) | instskip(NEXT) | instid1(VALU_DEP_1)
	v_add_f32_e32 v37, v33, v37
	v_add_f32_e32 v39, v38, v37
	s_delay_alu instid0(VALU_DEP_3) | instskip(NEXT) | instid1(VALU_DEP_2)
	v_add_f32_e32 v33, v33, v35
	v_rcp_f32_e32 v35, v39
	s_delay_alu instid0(VALU_DEP_1) | instskip(SKIP_1) | instid1(VALU_DEP_1)
	v_add_f32_e32 v40, v36, v33
	v_sub_f32_e32 v38, v38, v39
	v_dual_sub_f32 v36, v36, v40 :: v_dual_add_f32 v37, v37, v38
	s_waitcnt_depctr 0xfff
	v_mul_f32_e32 v41, v40, v35
	s_delay_alu instid0(VALU_DEP_1) | instskip(NEXT) | instid1(VALU_DEP_1)
	v_dual_add_f32 v33, v33, v36 :: v_dual_mul_f32 v42, v39, v41
	v_fma_f32 v38, v41, v39, -v42
	s_delay_alu instid0(VALU_DEP_1) | instskip(NEXT) | instid1(VALU_DEP_1)
	v_fmac_f32_e32 v38, v41, v37
	v_add_f32_e32 v43, v42, v38
	s_delay_alu instid0(VALU_DEP_1) | instskip(SKIP_1) | instid1(VALU_DEP_2)
	v_sub_f32_e32 v44, v40, v43
	v_sub_f32_e32 v36, v43, v42
	;; [unrolled: 1-line block ×3, first 2 shown]
	s_delay_alu instid0(VALU_DEP_2) | instskip(NEXT) | instid1(VALU_DEP_2)
	v_sub_f32_e32 v36, v36, v38
	v_sub_f32_e32 v40, v40, v43
	s_delay_alu instid0(VALU_DEP_1) | instskip(NEXT) | instid1(VALU_DEP_1)
	v_add_f32_e32 v33, v33, v40
	v_add_f32_e32 v33, v36, v33
	s_delay_alu instid0(VALU_DEP_1) | instskip(NEXT) | instid1(VALU_DEP_1)
	v_add_f32_e32 v36, v44, v33
	v_mul_f32_e32 v38, v35, v36
	s_delay_alu instid0(VALU_DEP_1) | instskip(NEXT) | instid1(VALU_DEP_1)
	v_dual_sub_f32 v43, v44, v36 :: v_dual_mul_f32 v40, v39, v38
	v_add_f32_e32 v33, v33, v43
	s_delay_alu instid0(VALU_DEP_2) | instskip(NEXT) | instid1(VALU_DEP_1)
	v_fma_f32 v39, v38, v39, -v40
	v_fmac_f32_e32 v39, v38, v37
	s_delay_alu instid0(VALU_DEP_1) | instskip(NEXT) | instid1(VALU_DEP_1)
	v_add_f32_e32 v37, v40, v39
	v_sub_f32_e32 v42, v36, v37
	v_sub_f32_e32 v40, v37, v40
	s_delay_alu instid0(VALU_DEP_2) | instskip(NEXT) | instid1(VALU_DEP_1)
	v_sub_f32_e32 v36, v36, v42
	v_sub_f32_e32 v36, v36, v37
	s_delay_alu instid0(VALU_DEP_3) | instskip(NEXT) | instid1(VALU_DEP_2)
	v_sub_f32_e32 v37, v40, v39
	v_add_f32_e32 v33, v33, v36
	v_add_f32_e32 v36, v41, v38
	s_delay_alu instid0(VALU_DEP_2) | instskip(NEXT) | instid1(VALU_DEP_2)
	v_add_f32_e32 v33, v37, v33
	v_sub_f32_e32 v37, v36, v41
	s_delay_alu instid0(VALU_DEP_2) | instskip(NEXT) | instid1(VALU_DEP_2)
	v_add_f32_e32 v33, v42, v33
	v_sub_f32_e32 v37, v38, v37
	s_delay_alu instid0(VALU_DEP_2) | instskip(NEXT) | instid1(VALU_DEP_1)
	v_mul_f32_e32 v33, v35, v33
	v_add_f32_e32 v33, v37, v33
	s_delay_alu instid0(VALU_DEP_1) | instskip(NEXT) | instid1(VALU_DEP_1)
	v_add_f32_e32 v35, v36, v33
	v_mul_f32_e32 v37, v35, v35
	s_delay_alu instid0(VALU_DEP_1) | instskip(SKIP_1) | instid1(VALU_DEP_2)
	v_fmaak_f32 v38, s12, v37, 0x3ecc95a3
	v_mul_f32_e32 v39, v35, v37
	v_fmaak_f32 v37, v37, v38, 0x3f2aaada
	v_ldexp_f32 v38, v35, 1
	v_sub_f32_e32 v35, v35, v36
	s_delay_alu instid0(VALU_DEP_3) | instskip(SKIP_1) | instid1(VALU_DEP_2)
	v_mul_f32_e32 v37, v39, v37
	v_mul_f32_e32 v39, 0x3f317218, v32
	v_dual_sub_f32 v33, v33, v35 :: v_dual_add_f32 v36, v38, v37
	s_delay_alu instid0(VALU_DEP_1) | instskip(NEXT) | instid1(VALU_DEP_2)
	v_ldexp_f32 v33, v33, 1
	v_sub_f32_e32 v35, v36, v38
	s_delay_alu instid0(VALU_DEP_4) | instskip(NEXT) | instid1(VALU_DEP_1)
	v_fma_f32 v38, 0x3f317218, v32, -v39
	v_dual_sub_f32 v35, v37, v35 :: v_dual_fmac_f32 v38, 0xb102e308, v32
	s_delay_alu instid0(VALU_DEP_1) | instskip(NEXT) | instid1(VALU_DEP_1)
	v_dual_add_f32 v32, v33, v35 :: v_dual_add_f32 v33, v39, v38
	v_add_f32_e32 v35, v36, v32
	s_delay_alu instid0(VALU_DEP_2) | instskip(NEXT) | instid1(VALU_DEP_2)
	v_sub_f32_e32 v39, v33, v39
	v_dual_add_f32 v37, v33, v35 :: v_dual_sub_f32 v36, v35, v36
	s_delay_alu instid0(VALU_DEP_2) | instskip(NEXT) | instid1(VALU_DEP_2)
	v_sub_f32_e32 v38, v38, v39
	v_sub_f32_e32 v40, v37, v33
	s_delay_alu instid0(VALU_DEP_3) | instskip(NEXT) | instid1(VALU_DEP_2)
	v_sub_f32_e32 v32, v32, v36
	v_sub_f32_e32 v41, v37, v40
	;; [unrolled: 1-line block ×3, first 2 shown]
	s_delay_alu instid0(VALU_DEP_2) | instskip(NEXT) | instid1(VALU_DEP_1)
	v_dual_add_f32 v36, v38, v32 :: v_dual_sub_f32 v33, v33, v41
	v_add_f32_e32 v33, v35, v33
	s_delay_alu instid0(VALU_DEP_2) | instskip(NEXT) | instid1(VALU_DEP_2)
	v_sub_f32_e32 v35, v36, v38
	v_add_f32_e32 v33, v36, v33
	s_delay_alu instid0(VALU_DEP_2) | instskip(NEXT) | instid1(VALU_DEP_2)
	v_sub_f32_e32 v36, v36, v35
	v_dual_sub_f32 v32, v32, v35 :: v_dual_add_f32 v39, v37, v33
	s_delay_alu instid0(VALU_DEP_1) | instskip(NEXT) | instid1(VALU_DEP_1)
	v_dual_sub_f32 v36, v38, v36 :: v_dual_sub_f32 v35, v39, v37
	v_dual_add_f32 v32, v32, v36 :: v_dual_sub_f32 v33, v33, v35
	s_delay_alu instid0(VALU_DEP_1) | instskip(NEXT) | instid1(VALU_DEP_1)
	v_add_f32_e32 v32, v32, v33
	v_add_f32_e32 v32, v39, v32
	s_delay_alu instid0(VALU_DEP_1)
	v_cndmask_b32_e64 v32, v32, v34, s0
.LBB1_15:                               ;   in Loop: Header=BB1_13 Depth=1
	s_or_b32 exec_lo, exec_lo, s13
	global_load_b32 v37, v[4:5], off
	global_load_b32 v38, v[0:1], off
	v_add_co_u32 v33, s0, v21, v22
	s_delay_alu instid0(VALU_DEP_1)
	v_add_co_ci_u32_e64 v34, s0, v29, v23, s0
	v_add_co_u32 v35, s0, v30, v22
	s_clause 0x1
	global_load_b32 v39, v[33:34], off
	global_load_b32 v40, v[33:34], off offset:128
	v_add_co_ci_u32_e64 v36, s0, v31, v23, s0
	global_load_b32 v41, v[33:34], off offset:256
	global_load_b32 v42, v[35:36], off
	global_load_b32 v43, v[33:34], off offset:384
	global_load_b32 v44, v[35:36], off offset:128
	global_load_b32 v45, v[33:34], off offset:512
	global_load_b32 v46, v[35:36], off offset:256
	global_load_b32 v47, v[33:34], off offset:640
	global_load_b32 v48, v[35:36], off offset:384
	global_load_b32 v49, v[33:34], off offset:768
	s_clause 0x1
	global_load_b32 v50, v[35:36], off offset:512
	global_load_b32 v51, v[35:36], off offset:640
	;; [unrolled: 1-line block ×3, first 2 shown]
	s_clause 0x1
	global_load_b32 v53, v[35:36], off offset:768
	global_load_b32 v54, v[35:36], off offset:896
	s_waitcnt vmcnt(17)
	v_mul_f32_e32 v33, v32, v37
	s_waitcnt vmcnt(16)
	s_delay_alu instid0(VALU_DEP_1) | instskip(SKIP_1) | instid1(VALU_DEP_1)
	v_dual_mul_f32 v55, v32, v38 :: v_dual_mul_f32 v34, 0x3fb8aa3b, v33
	s_waitcnt vmcnt(15)
	v_mul_f32_e32 v38, v55, v39
	s_waitcnt vmcnt(14)
	v_mul_f32_e32 v37, v55, v40
	v_fma_f32 v35, 0x3fb8aa3b, v33, -v34
	v_rndne_f32_e32 v36, v34
	s_waitcnt vmcnt(2)
	v_mul_f32_e32 v39, v55, v52
	s_delay_alu instid0(VALU_DEP_2) | instskip(SKIP_1) | instid1(VALU_DEP_2)
	v_dual_sub_f32 v34, v34, v36 :: v_dual_fmac_f32 v35, 0x32a5705f, v33
	v_cmp_ngt_f32_e64 s0, 0xc2ce8ed0, v33
	v_add_f32_e32 v34, v34, v35
	v_cvt_i32_f32_e32 v35, v36
	s_delay_alu instid0(VALU_DEP_2) | instskip(SKIP_3) | instid1(VALU_DEP_2)
	v_exp_f32_e32 v34, v34
	s_waitcnt_depctr 0xfff
	v_ldexp_f32 v34, v34, v35
	v_mul_f32_e32 v35, v55, v43
	v_cndmask_b32_e64 v32, 0, v34, s0
	v_cmp_nlt_f32_e64 s0, 0x42b17218, v33
	v_mul_f32_e32 v33, v55, v47
	s_delay_alu instid0(VALU_DEP_2) | instskip(SKIP_1) | instid1(VALU_DEP_2)
	v_cndmask_b32_e64 v56, 0x7f800000, v32, s0
	v_mul_f32_e32 v36, v55, v41
	v_dual_mul_f32 v32, v55, v49 :: v_dual_fmac_f32 v37, v56, v15
	v_fmac_f32_e32 v38, v56, v13
	s_delay_alu instid0(VALU_DEP_3)
	v_fmac_f32_e32 v36, v56, v16
	v_fmac_f32_e32 v35, v56, v17
	;; [unrolled: 1-line block ×4, first 2 shown]
	v_fma_f32 v13, v42, v38, 0
	v_fmac_f32_e32 v32, v56, v20
	s_delay_alu instid0(VALU_DEP_2) | instskip(NEXT) | instid1(VALU_DEP_1)
	v_fmac_f32_e32 v13, v44, v37
	v_dual_mul_f32 v34, v55, v45 :: v_dual_fmac_f32 v13, v46, v36
	s_delay_alu instid0(VALU_DEP_1) | instskip(NEXT) | instid1(VALU_DEP_2)
	v_fmac_f32_e32 v34, v56, v18
	v_fmac_f32_e32 v13, v48, v35
	s_delay_alu instid0(VALU_DEP_1) | instskip(NEXT) | instid1(VALU_DEP_1)
	v_fmac_f32_e32 v13, v50, v34
	v_fmac_f32_e32 v13, v51, v33
	s_waitcnt vmcnt(1)
	s_delay_alu instid0(VALU_DEP_1) | instskip(SKIP_1) | instid1(VALU_DEP_1)
	v_fmac_f32_e32 v13, v53, v32
	s_waitcnt vmcnt(0)
	v_fmac_f32_e32 v13, v54, v39
	ds_bpermute_b32 v14, v24, v13
	s_waitcnt lgkmcnt(0)
	v_add_f32_e32 v13, v13, v14
	ds_bpermute_b32 v14, v25, v13
	s_waitcnt lgkmcnt(0)
	v_add_f32_e32 v13, v13, v14
	;; [unrolled: 3-line block ×4, first 2 shown]
	ds_bpermute_b32 v14, v28, v13
	s_and_saveexec_b32 s0, vcc_lo
	s_cbranch_execz .LBB1_17
; %bb.16:                               ;   in Loop: Header=BB1_13 Depth=1
	s_waitcnt lgkmcnt(0)
	v_add_f32_e32 v13, v13, v14
	global_store_b32 v[6:7], v13, off
.LBB1_17:                               ;   in Loop: Header=BB1_13 Depth=1
	s_or_b32 exec_lo, exec_lo, s0
	v_add_co_u32 v6, s0, v6, s2
	s_delay_alu instid0(VALU_DEP_1) | instskip(SKIP_1) | instid1(VALU_DEP_1)
	v_add_co_ci_u32_e64 v7, s0, s3, v7, s0
	v_add_co_u32 v2, s0, v2, s4
	v_add_co_ci_u32_e64 v3, s0, s5, v3, s0
	v_add_co_u32 v0, s0, v0, s6
	s_delay_alu instid0(VALU_DEP_1) | instskip(SKIP_1) | instid1(VALU_DEP_1)
	v_add_co_ci_u32_e64 v1, s0, s7, v1, s0
	v_add_co_u32 v21, s0, v21, s8
	v_add_co_ci_u32_e64 v29, s0, s9, v29, s0
	v_add_co_u32 v30, s0, v30, s10
	s_add_u32 s44, s44, -1
	v_add_co_ci_u32_e64 v31, s0, s11, v31, s0
	s_addc_u32 s45, s45, -1
	s_delay_alu instid0(SALU_CYCLE_1)
	s_cmp_eq_u64 s[44:45], 0
	s_cbranch_scc1 .LBB1_20
; %bb.18:                               ;   in Loop: Header=BB1_13 Depth=1
	v_dual_mov_b32 v13, v38 :: v_dual_mov_b32 v16, v36
	v_dual_mov_b32 v15, v37 :: v_dual_mov_b32 v18, v34
	;; [unrolled: 1-line block ×3, first 2 shown]
	s_waitcnt lgkmcnt(0)
	v_dual_mov_b32 v19, v33 :: v_dual_mov_b32 v14, v39
	s_branch .LBB1_13
.LBB1_19:
	s_waitcnt vmcnt(0)
	v_dual_mov_b32 v39, v14 :: v_dual_mov_b32 v32, v20
	v_dual_mov_b32 v33, v19 :: v_dual_mov_b32 v34, v18
	;; [unrolled: 1-line block ×4, first 2 shown]
.LBB1_20:
	s_mul_i32 s1, s34, s37
	s_add_u32 s0, s18, s20
	s_addc_u32 s2, s19, s21
	s_ashr_i32 s3, s1, 31
	s_add_u32 s0, s0, s1
	s_addc_u32 s1, s2, s3
	v_add_co_u32 v0, vcc_lo, s0, v8
	v_add_co_ci_u32_e32 v1, vcc_lo, s1, v11, vcc_lo
	s_delay_alu instid0(VALU_DEP_2) | instskip(NEXT) | instid1(VALU_DEP_2)
	v_add_co_u32 v0, vcc_lo, v0, v9
	v_add_co_ci_u32_e32 v1, vcc_lo, v1, v10, vcc_lo
	s_delay_alu instid0(VALU_DEP_2) | instskip(NEXT) | instid1(VALU_DEP_2)
	v_add_co_u32 v0, vcc_lo, v0, v12
	v_add_co_ci_u32_e32 v1, vcc_lo, 0, v1, vcc_lo
	s_clause 0x7
	global_store_b32 v[0:1], v38, off
	global_store_b32 v[0:1], v37, off offset:128
	global_store_b32 v[0:1], v36, off offset:256
	;; [unrolled: 1-line block ×7, first 2 shown]
	s_nop 0
	s_sendmsg sendmsg(MSG_DEALLOC_VGPRS)
	s_endpgm
.LBB1_21:
                                        ; implicit-def: $sgpr2_sgpr3
	s_load_b128 s[28:31], s[0:1], 0x60
	s_branch .LBB1_7
	.section	.rodata,"a",@progbits
	.p2align	6, 0x0
	.amdhsa_kernel _Z18ssm_scan_f32_groupILi8ELi256EEvPKfS1_S1_S1_S1_S1_PKiPfiiiiiiiiiiilllll
		.amdhsa_group_segment_fixed_size 0
		.amdhsa_private_segment_fixed_size 0
		.amdhsa_kernarg_size 152
		.amdhsa_user_sgpr_count 14
		.amdhsa_user_sgpr_dispatch_ptr 0
		.amdhsa_user_sgpr_queue_ptr 0
		.amdhsa_user_sgpr_kernarg_segment_ptr 1
		.amdhsa_user_sgpr_dispatch_id 0
		.amdhsa_user_sgpr_private_segment_size 0
		.amdhsa_wavefront_size32 1
		.amdhsa_uses_dynamic_stack 0
		.amdhsa_enable_private_segment 0
		.amdhsa_system_sgpr_workgroup_id_x 1
		.amdhsa_system_sgpr_workgroup_id_y 1
		.amdhsa_system_sgpr_workgroup_id_z 0
		.amdhsa_system_sgpr_workgroup_info 0
		.amdhsa_system_vgpr_workitem_id 0
		.amdhsa_next_free_vgpr 57
		.amdhsa_next_free_sgpr 49
		.amdhsa_reserve_vcc 1
		.amdhsa_float_round_mode_32 0
		.amdhsa_float_round_mode_16_64 0
		.amdhsa_float_denorm_mode_32 3
		.amdhsa_float_denorm_mode_16_64 3
		.amdhsa_dx10_clamp 1
		.amdhsa_ieee_mode 1
		.amdhsa_fp16_overflow 0
		.amdhsa_workgroup_processor_mode 1
		.amdhsa_memory_ordered 1
		.amdhsa_forward_progress 0
		.amdhsa_shared_vgpr_count 0
		.amdhsa_exception_fp_ieee_invalid_op 0
		.amdhsa_exception_fp_denorm_src 0
		.amdhsa_exception_fp_ieee_div_zero 0
		.amdhsa_exception_fp_ieee_overflow 0
		.amdhsa_exception_fp_ieee_underflow 0
		.amdhsa_exception_fp_ieee_inexact 0
		.amdhsa_exception_int_div_zero 0
	.end_amdhsa_kernel
	.section	.text._Z18ssm_scan_f32_groupILi8ELi256EEvPKfS1_S1_S1_S1_S1_PKiPfiiiiiiiiiiilllll,"axG",@progbits,_Z18ssm_scan_f32_groupILi8ELi256EEvPKfS1_S1_S1_S1_S1_PKiPfiiiiiiiiiiilllll,comdat
.Lfunc_end1:
	.size	_Z18ssm_scan_f32_groupILi8ELi256EEvPKfS1_S1_S1_S1_S1_PKiPfiiiiiiiiiiilllll, .Lfunc_end1-_Z18ssm_scan_f32_groupILi8ELi256EEvPKfS1_S1_S1_S1_S1_PKiPfiiiiiiiiiiilllll
                                        ; -- End function
	.section	.AMDGPU.csdata,"",@progbits
; Kernel info:
; codeLenInByte = 5152
; NumSgprs: 51
; NumVgprs: 57
; ScratchSize: 0
; MemoryBound: 0
; FloatMode: 240
; IeeeMode: 1
; LDSByteSize: 0 bytes/workgroup (compile time only)
; SGPRBlocks: 6
; VGPRBlocks: 7
; NumSGPRsForWavesPerEU: 51
; NumVGPRsForWavesPerEU: 57
; Occupancy: 16
; WaveLimiterHint : 1
; COMPUTE_PGM_RSRC2:SCRATCH_EN: 0
; COMPUTE_PGM_RSRC2:USER_SGPR: 14
; COMPUTE_PGM_RSRC2:TRAP_HANDLER: 0
; COMPUTE_PGM_RSRC2:TGID_X_EN: 1
; COMPUTE_PGM_RSRC2:TGID_Y_EN: 1
; COMPUTE_PGM_RSRC2:TGID_Z_EN: 0
; COMPUTE_PGM_RSRC2:TIDIG_COMP_CNT: 0
	.section	.text._Z12ssm_scan_f32ILm128ELm16ELm1EEvPKfS1_S1_S1_S1_S1_PKiPfiiiiiiiiiiilll,"axG",@progbits,_Z12ssm_scan_f32ILm128ELm16ELm1EEvPKfS1_S1_S1_S1_S1_PKiPfiiiiiiiiiiilll,comdat
	.protected	_Z12ssm_scan_f32ILm128ELm16ELm1EEvPKfS1_S1_S1_S1_S1_PKiPfiiiiiiiiiiilll ; -- Begin function _Z12ssm_scan_f32ILm128ELm16ELm1EEvPKfS1_S1_S1_S1_S1_PKiPfiiiiiiiiiiilll
	.globl	_Z12ssm_scan_f32ILm128ELm16ELm1EEvPKfS1_S1_S1_S1_S1_PKiPfiiiiiiiiiiilll
	.p2align	8
	.type	_Z12ssm_scan_f32ILm128ELm16ELm1EEvPKfS1_S1_S1_S1_S1_PKiPfiiiiiiiiiiilll,@function
_Z12ssm_scan_f32ILm128ELm16ELm1EEvPKfS1_S1_S1_S1_S1_PKiPfiiiiiiiiiiilll: ; @_Z12ssm_scan_f32ILm128ELm16ELm1EEvPKfS1_S1_S1_S1_S1_PKiPfiiiiiiiiiiilll
; %bb.0:
	s_load_b512 s[16:31], s[0:1], 0x0
	s_mov_b32 s5, 0
	s_mov_b32 s4, s15
	;; [unrolled: 1-line block ×3, first 2 shown]
	v_mov_b32_e32 v36, 0
	s_lshl_b64 s[2:3], s[14:15], 2
	s_waitcnt lgkmcnt(0)
	s_add_u32 s2, s28, s2
	s_addc_u32 s3, s29, s3
	s_load_b32 s8, s[2:3], 0x0
	s_clause 0x1
	s_load_b64 s[2:3], s[0:1], 0x40
	s_load_b64 s[6:7], s[0:1], 0x54
	s_waitcnt lgkmcnt(0)
	s_mul_i32 s8, s8, s3
	s_delay_alu instid0(SALU_CYCLE_1)
	s_ashr_i32 s9, s8, 31
	s_add_u32 s10, s16, s8
	s_addc_u32 s11, s17, s9
	s_lshl_b32 s12, s4, 7
	s_ashr_i32 s8, s2, 31
	s_lshr_b32 s13, s4, 25
	s_mul_i32 s8, s12, s8
	s_mul_hi_u32 s9, s12, s2
	s_mul_i32 s15, s13, s2
	s_add_i32 s9, s9, s8
	s_mul_i32 s8, s12, s2
	s_add_i32 s9, s9, s15
	s_add_u32 s10, s10, s8
	s_addc_u32 s11, s11, s9
	s_ashr_i32 s15, s7, 31
	s_mul_hi_u32 s16, s12, s7
	s_mul_i32 s15, s12, s15
	s_mul_i32 s13, s13, s7
	s_add_i32 s15, s16, s15
	s_mul_i32 s12, s12, s7
	s_add_i32 s15, s15, s13
	s_add_u32 s12, s22, s12
	s_addc_u32 s13, s23, s15
	s_ashr_i32 s7, s7, 2
	s_ashr_i32 s2, s2, 2
	v_mul_lo_u32 v35, s7, v0
	s_delay_alu instid0(VALU_DEP_1) | instskip(SKIP_2) | instid1(VALU_DEP_2)
	v_lshlrev_b64 v[1:2], 2, v[35:36]
	v_mul_lo_u32 v35, s2, v0
	s_mov_b32 s2, exec_lo
	v_add_co_u32 v1, vcc_lo, s12, v1
	s_delay_alu instid0(VALU_DEP_3) | instskip(NEXT) | instid1(VALU_DEP_3)
	v_add_co_ci_u32_e32 v2, vcc_lo, s13, v2, vcc_lo
	v_lshlrev_b64 v[34:35], 2, v[35:36]
	s_delay_alu instid0(VALU_DEP_1) | instskip(NEXT) | instid1(VALU_DEP_2)
	v_add_co_u32 v14, vcc_lo, s10, v34
	v_add_co_ci_u32_e32 v15, vcc_lo, s11, v35, vcc_lo
	s_clause 0x3
	global_load_b128 v[18:21], v[1:2], off offset:48
	global_load_b128 v[22:25], v[1:2], off offset:32
	;; [unrolled: 1-line block ×3, first 2 shown]
	global_load_b128 v[30:33], v[1:2], off
	s_clause 0x3
	global_load_b128 v[2:5], v[14:15], off offset:48
	global_load_b128 v[6:9], v[14:15], off offset:32
	;; [unrolled: 1-line block ×3, first 2 shown]
	global_load_b128 v[14:17], v[14:15], off
	v_cmpx_lt_u32_e32 15, v0
	s_xor_b32 s2, exec_lo, s2
; %bb.1:
	v_mov_b32_e32 v1, v36
; %bb.2:
	s_and_not1_saveexec_b32 s2, s2
	s_cbranch_execz .LBB2_4
; %bb.3:
	s_clause 0x1
	s_load_b32 s7, s[0:1], 0x68
	s_load_b32 s10, s[0:1], 0x60
	v_dual_mov_b32 v1, 0 :: v_dual_lshlrev_b32 v36, 2, v0
	s_waitcnt lgkmcnt(0)
	s_mul_i32 s7, s14, s7
	s_mul_i32 s12, s14, s10
	s_add_u32 s10, s26, s7
	s_addc_u32 s11, s27, 0
	s_add_u32 s12, s24, s12
	s_addc_u32 s13, s25, 0
	s_clause 0x1
	global_load_b32 v37, v36, s[12:13]
	global_load_b32 v38, v36, s[10:11]
	s_waitcnt vmcnt(0)
	ds_store_2addr_b32 v36, v37, v38 offset1:16
.LBB2_4:
	s_or_b32 exec_lo, exec_lo, s2
	s_mul_i32 s2, s14, s6
	v_lshlrev_b64 v[0:1], 2, v[0:1]
	s_lshl_b64 s[4:5], s[4:5], 9
	s_add_u32 s2, s20, s2
	s_addc_u32 s6, s21, 0
	s_add_u32 s2, s2, s4
	s_addc_u32 s6, s6, s5
	v_add_co_u32 v36, vcc_lo, s2, v0
	v_add_co_ci_u32_e32 v37, vcc_lo, s6, v1, vcc_lo
	s_waitcnt vmcnt(0) lgkmcnt(0)
	s_barrier
	buffer_gl0_inv
	global_load_b32 v36, v[36:37], off
	s_mov_b32 s6, exec_lo
	s_waitcnt vmcnt(0)
	v_cmpx_ge_f32_e32 0x41a00000, v36
	s_cbranch_execz .LBB2_6
; %bb.5:
	v_mul_f32_e32 v37, 0x3fb8aa3b, v36
	v_cmp_ngt_f32_e32 vcc_lo, 0xc2ce8ed0, v36
	s_mov_b32 s2, 0x3e9b6dac
	s_delay_alu instid0(VALU_DEP_2) | instskip(SKIP_1) | instid1(VALU_DEP_2)
	v_rndne_f32_e32 v38, v37
	v_fma_f32 v39, 0x3fb8aa3b, v36, -v37
	v_sub_f32_e32 v37, v37, v38
	s_delay_alu instid0(VALU_DEP_2) | instskip(SKIP_1) | instid1(VALU_DEP_2)
	v_fmamk_f32 v39, v36, 0x32a5705f, v39
	v_cvt_i32_f32_e32 v38, v38
	v_add_f32_e32 v37, v37, v39
	s_delay_alu instid0(VALU_DEP_1) | instskip(SKIP_2) | instid1(VALU_DEP_1)
	v_exp_f32_e32 v37, v37
	s_waitcnt_depctr 0xfff
	v_ldexp_f32 v37, v37, v38
	v_cndmask_b32_e32 v37, 0, v37, vcc_lo
	v_cmp_nlt_f32_e32 vcc_lo, 0x42b17218, v36
	s_delay_alu instid0(VALU_DEP_2) | instskip(NEXT) | instid1(VALU_DEP_1)
	v_cndmask_b32_e32 v38, 0x7f800000, v37, vcc_lo
	v_add_f32_e32 v39, 1.0, v38
	s_delay_alu instid0(VALU_DEP_1) | instskip(NEXT) | instid1(VALU_DEP_1)
	v_cvt_f64_f32_e32 v[36:37], v39
	v_frexp_exp_i32_f64_e32 v36, v[36:37]
	v_frexp_mant_f32_e32 v37, v39
	s_delay_alu instid0(VALU_DEP_1) | instskip(SKIP_1) | instid1(VALU_DEP_1)
	v_cmp_gt_f32_e32 vcc_lo, 0x3f2aaaab, v37
	v_add_f32_e32 v37, -1.0, v39
	v_sub_f32_e32 v41, v37, v39
	v_sub_f32_e32 v37, v38, v37
	s_delay_alu instid0(VALU_DEP_2) | instskip(NEXT) | instid1(VALU_DEP_1)
	v_add_f32_e32 v41, 1.0, v41
	v_add_f32_e32 v37, v37, v41
	v_subrev_co_ci_u32_e32 v36, vcc_lo, 0, v36, vcc_lo
	v_cmp_eq_f32_e32 vcc_lo, 0x7f800000, v38
	s_delay_alu instid0(VALU_DEP_2) | instskip(SKIP_1) | instid1(VALU_DEP_2)
	v_sub_nc_u32_e32 v40, 0, v36
	v_cvt_f32_i32_e32 v36, v36
	v_ldexp_f32 v39, v39, v40
	v_ldexp_f32 v37, v37, v40
	s_delay_alu instid0(VALU_DEP_2) | instskip(NEXT) | instid1(VALU_DEP_1)
	v_add_f32_e32 v42, 1.0, v39
	v_dual_add_f32 v40, -1.0, v39 :: v_dual_add_f32 v41, -1.0, v42
	s_delay_alu instid0(VALU_DEP_1) | instskip(NEXT) | instid1(VALU_DEP_2)
	v_add_f32_e32 v43, 1.0, v40
	v_sub_f32_e32 v41, v39, v41
	s_delay_alu instid0(VALU_DEP_2) | instskip(NEXT) | instid1(VALU_DEP_2)
	v_sub_f32_e32 v39, v39, v43
	v_add_f32_e32 v41, v37, v41
	s_delay_alu instid0(VALU_DEP_1) | instskip(NEXT) | instid1(VALU_DEP_3)
	v_add_f32_e32 v43, v42, v41
	v_add_f32_e32 v37, v37, v39
	s_delay_alu instid0(VALU_DEP_2) | instskip(NEXT) | instid1(VALU_DEP_1)
	v_rcp_f32_e32 v39, v43
	v_add_f32_e32 v44, v40, v37
	v_sub_f32_e32 v42, v42, v43
	s_delay_alu instid0(VALU_DEP_1) | instskip(SKIP_2) | instid1(VALU_DEP_1)
	v_dual_sub_f32 v40, v40, v44 :: v_dual_add_f32 v41, v41, v42
	s_waitcnt_depctr 0xfff
	v_mul_f32_e32 v45, v44, v39
	v_dual_add_f32 v37, v37, v40 :: v_dual_mul_f32 v46, v43, v45
	s_delay_alu instid0(VALU_DEP_1) | instskip(NEXT) | instid1(VALU_DEP_1)
	v_fma_f32 v42, v45, v43, -v46
	v_fmac_f32_e32 v42, v45, v41
	s_delay_alu instid0(VALU_DEP_1) | instskip(NEXT) | instid1(VALU_DEP_1)
	v_add_f32_e32 v47, v46, v42
	v_sub_f32_e32 v48, v44, v47
	v_sub_f32_e32 v40, v47, v46
	s_delay_alu instid0(VALU_DEP_2) | instskip(NEXT) | instid1(VALU_DEP_2)
	v_sub_f32_e32 v44, v44, v48
	v_sub_f32_e32 v40, v40, v42
	s_delay_alu instid0(VALU_DEP_2) | instskip(NEXT) | instid1(VALU_DEP_1)
	v_sub_f32_e32 v44, v44, v47
	v_add_f32_e32 v37, v37, v44
	s_delay_alu instid0(VALU_DEP_1) | instskip(NEXT) | instid1(VALU_DEP_1)
	v_add_f32_e32 v37, v40, v37
	v_add_f32_e32 v40, v48, v37
	s_delay_alu instid0(VALU_DEP_1) | instskip(NEXT) | instid1(VALU_DEP_1)
	v_mul_f32_e32 v42, v39, v40
	v_dual_sub_f32 v47, v48, v40 :: v_dual_mul_f32 v44, v43, v42
	s_delay_alu instid0(VALU_DEP_1) | instskip(NEXT) | instid1(VALU_DEP_2)
	v_add_f32_e32 v37, v37, v47
	v_fma_f32 v43, v42, v43, -v44
	s_delay_alu instid0(VALU_DEP_1) | instskip(NEXT) | instid1(VALU_DEP_1)
	v_fmac_f32_e32 v43, v42, v41
	v_add_f32_e32 v41, v44, v43
	s_delay_alu instid0(VALU_DEP_1) | instskip(SKIP_1) | instid1(VALU_DEP_2)
	v_sub_f32_e32 v46, v40, v41
	v_sub_f32_e32 v44, v41, v44
	;; [unrolled: 1-line block ×3, first 2 shown]
	s_delay_alu instid0(VALU_DEP_1) | instskip(NEXT) | instid1(VALU_DEP_3)
	v_sub_f32_e32 v40, v40, v41
	v_sub_f32_e32 v41, v44, v43
	s_delay_alu instid0(VALU_DEP_2) | instskip(SKIP_1) | instid1(VALU_DEP_2)
	v_add_f32_e32 v37, v37, v40
	v_add_f32_e32 v40, v45, v42
	;; [unrolled: 1-line block ×3, first 2 shown]
	s_delay_alu instid0(VALU_DEP_2) | instskip(NEXT) | instid1(VALU_DEP_2)
	v_sub_f32_e32 v41, v40, v45
	v_add_f32_e32 v37, v46, v37
	s_delay_alu instid0(VALU_DEP_2) | instskip(NEXT) | instid1(VALU_DEP_2)
	v_sub_f32_e32 v41, v42, v41
	v_mul_f32_e32 v37, v39, v37
	s_delay_alu instid0(VALU_DEP_1) | instskip(NEXT) | instid1(VALU_DEP_1)
	v_add_f32_e32 v37, v41, v37
	v_add_f32_e32 v39, v40, v37
	s_delay_alu instid0(VALU_DEP_1) | instskip(NEXT) | instid1(VALU_DEP_1)
	v_mul_f32_e32 v41, v39, v39
	v_fmaak_f32 v42, s2, v41, 0x3ecc95a3
	v_mul_f32_e32 v43, v39, v41
	v_cmp_gt_f32_e64 s2, 0x33800000, v38
	s_delay_alu instid0(VALU_DEP_3) | instskip(SKIP_2) | instid1(VALU_DEP_4)
	v_fmaak_f32 v41, v41, v42, 0x3f2aaada
	v_ldexp_f32 v42, v39, 1
	v_sub_f32_e32 v39, v39, v40
	s_or_b32 vcc_lo, s2, vcc_lo
	s_delay_alu instid0(VALU_DEP_3) | instskip(SKIP_1) | instid1(VALU_DEP_2)
	v_mul_f32_e32 v41, v43, v41
	v_mul_f32_e32 v43, 0x3f317218, v36
	v_dual_sub_f32 v37, v37, v39 :: v_dual_add_f32 v40, v42, v41
	s_delay_alu instid0(VALU_DEP_1) | instskip(NEXT) | instid1(VALU_DEP_2)
	v_ldexp_f32 v37, v37, 1
	v_sub_f32_e32 v39, v40, v42
	s_delay_alu instid0(VALU_DEP_4) | instskip(NEXT) | instid1(VALU_DEP_1)
	v_fma_f32 v42, 0x3f317218, v36, -v43
	v_dual_sub_f32 v39, v41, v39 :: v_dual_fmamk_f32 v36, v36, 0xb102e308, v42
	s_delay_alu instid0(VALU_DEP_1) | instskip(NEXT) | instid1(VALU_DEP_2)
	v_add_f32_e32 v37, v37, v39
	v_add_f32_e32 v39, v43, v36
	s_delay_alu instid0(VALU_DEP_2) | instskip(NEXT) | instid1(VALU_DEP_2)
	v_add_f32_e32 v41, v40, v37
	v_sub_f32_e32 v43, v39, v43
	s_delay_alu instid0(VALU_DEP_2) | instskip(SKIP_1) | instid1(VALU_DEP_3)
	v_add_f32_e32 v42, v39, v41
	v_sub_f32_e32 v40, v41, v40
	v_sub_f32_e32 v36, v36, v43
	s_delay_alu instid0(VALU_DEP_2) | instskip(NEXT) | instid1(VALU_DEP_1)
	v_dual_sub_f32 v44, v42, v39 :: v_dual_sub_f32 v37, v37, v40
	v_sub_f32_e32 v45, v42, v44
	s_delay_alu instid0(VALU_DEP_2) | instskip(NEXT) | instid1(VALU_DEP_2)
	v_dual_sub_f32 v40, v41, v44 :: v_dual_add_f32 v41, v36, v37
	v_sub_f32_e32 v39, v39, v45
	s_delay_alu instid0(VALU_DEP_1) | instskip(NEXT) | instid1(VALU_DEP_1)
	v_dual_add_f32 v39, v40, v39 :: v_dual_sub_f32 v40, v41, v36
	v_add_f32_e32 v39, v41, v39
	s_delay_alu instid0(VALU_DEP_2) | instskip(SKIP_1) | instid1(VALU_DEP_2)
	v_sub_f32_e32 v41, v41, v40
	v_sub_f32_e32 v37, v37, v40
	v_dual_add_f32 v43, v42, v39 :: v_dual_sub_f32 v36, v36, v41
	s_delay_alu instid0(VALU_DEP_1) | instskip(NEXT) | instid1(VALU_DEP_2)
	v_sub_f32_e32 v40, v43, v42
	v_add_f32_e32 v36, v37, v36
	s_delay_alu instid0(VALU_DEP_2) | instskip(NEXT) | instid1(VALU_DEP_1)
	v_sub_f32_e32 v37, v39, v40
	v_add_f32_e32 v36, v36, v37
	s_delay_alu instid0(VALU_DEP_1) | instskip(NEXT) | instid1(VALU_DEP_1)
	v_add_f32_e32 v36, v43, v36
	v_cndmask_b32_e32 v36, v36, v38, vcc_lo
.LBB2_6:
	s_or_b32 exec_lo, exec_lo, s6
	s_clause 0x1
	s_load_b128 s[20:23], s[0:1], 0x70
	s_load_b32 s6, s[0:1], 0x4c
	s_mul_i32 s0, s14, s3
	v_dual_mul_f32 v54, v36, v30 :: v_dual_mov_b32 v49, 0
	v_mul_f32_e32 v56, v36, v32
	v_mul_f32_e32 v57, v36, v33
	;; [unrolled: 1-line block ×6, first 2 shown]
	v_dual_mul_f32 v40, 0x3fb8aa3b, v57 :: v_dual_mul_f32 v63, v36, v23
	s_delay_alu instid0(VALU_DEP_4) | instskip(NEXT) | instid1(VALU_DEP_4)
	v_mul_f32_e32 v44, 0x3fb8aa3b, v61
	v_mul_f32_e32 v42, 0x3fb8aa3b, v59
	s_delay_alu instid0(VALU_DEP_4) | instskip(NEXT) | instid1(VALU_DEP_4)
	v_mul_f32_e32 v48, 0x3fb8aa3b, v65
	v_rndne_f32_e32 v78, v40
	v_mul_f32_e32 v46, 0x3fb8aa3b, v63
	v_fma_f32 v85, 0x3fb8aa3b, v61, -v44
	v_rndne_f32_e32 v82, v42
	s_waitcnt lgkmcnt(0)
	s_add_u32 s1, s30, s20
	s_addc_u32 s10, s31, s21
	s_add_u32 s0, s1, s0
	s_mul_i32 s3, s14, s23
	s_mul_hi_u32 s7, s14, s22
	s_addc_u32 s1, s10, 0
	s_add_u32 s0, s0, s8
	s_mul_i32 s2, s14, s22
	s_addc_u32 s1, s1, s9
	s_add_i32 s3, s7, s3
	s_mul_i32 s6, s14, s6
	s_lshl_b64 s[2:3], s[2:3], 2
	v_rndne_f32_e32 v86, v44
	s_add_u32 s2, s30, s2
	s_addc_u32 s3, s31, s3
	s_add_u32 s2, s2, s4
	s_addc_u32 s3, s3, s5
	;; [unrolled: 2-line block ×4, first 2 shown]
	v_add_co_u32 v37, vcc_lo, s4, v0
	v_add_co_ci_u32_e32 v38, vcc_lo, s5, v1, vcc_lo
	v_fma_f32 v81, 0x3fb8aa3b, v59, -v42
	v_fma_f32 v89, 0x3fb8aa3b, v63, -v46
	v_rndne_f32_e32 v90, v46
	global_load_b32 v53, v[37:38], off
	v_mul_f32_e32 v37, 0x3fb8aa3b, v54
	v_dual_mul_f32 v58, v36, v26 :: v_dual_mul_f32 v39, 0x3fb8aa3b, v56
	v_mul_f32_e32 v60, v36, v28
	v_mul_f32_e32 v38, 0x3fb8aa3b, v55
	s_delay_alu instid0(VALU_DEP_4) | instskip(NEXT) | instid1(VALU_DEP_4)
	v_fma_f32 v71, 0x3fb8aa3b, v54, -v37
	v_mul_f32_e32 v41, 0x3fb8aa3b, v58
	s_delay_alu instid0(VALU_DEP_4) | instskip(SKIP_3) | instid1(VALU_DEP_4)
	v_dual_mul_f32 v62, v36, v22 :: v_dual_mul_f32 v43, 0x3fb8aa3b, v60
	v_mul_f32_e32 v64, v36, v24
	v_rndne_f32_e32 v72, v37
	v_fma_f32 v73, 0x3fb8aa3b, v55, -v38
	v_mul_f32_e32 v45, 0x3fb8aa3b, v62
	s_delay_alu instid0(VALU_DEP_4) | instskip(SKIP_3) | instid1(VALU_DEP_4)
	v_dual_mul_f32 v66, v36, v18 :: v_dual_mul_f32 v47, 0x3fb8aa3b, v64
	v_mul_f32_e32 v67, v36, v19
	v_rndne_f32_e32 v74, v38
	v_fma_f32 v79, 0x3fb8aa3b, v58, -v41
	v_mul_f32_e32 v50, 0x3fb8aa3b, v66
	s_delay_alu instid0(VALU_DEP_4) | instskip(SKIP_3) | instid1(VALU_DEP_4)
	v_dual_mul_f32 v68, v36, v20 :: v_dual_mul_f32 v51, 0x3fb8aa3b, v67
	v_mul_f32_e32 v69, v36, v21
	v_rndne_f32_e32 v80, v41
	v_fma_f32 v87, 0x3fb8aa3b, v62, -v45
	v_mul_f32_e32 v52, 0x3fb8aa3b, v68
	ds_load_b128 v[18:21], v49
	ds_load_b128 v[22:25], v49 offset:16
	ds_load_b128 v[26:29], v49 offset:32
	;; [unrolled: 1-line block ×3, first 2 shown]
	v_dual_mul_f32 v70, 0x3fb8aa3b, v69 :: v_dual_sub_f32 v37, v37, v72
	v_fma_f32 v77, 0x3fb8aa3b, v57, -v40
	v_rndne_f32_e32 v84, v43
	v_dual_fmac_f32 v73, 0x32a5705f, v55 :: v_dual_sub_f32 v38, v38, v74
	v_fmac_f32_e32 v71, 0x32a5705f, v54
	v_sub_f32_e32 v41, v41, v80
	v_fmac_f32_e32 v87, 0x32a5705f, v62
	v_fmac_f32_e32 v79, 0x32a5705f, v58
	v_fma_f32 v75, 0x3fb8aa3b, v56, -v39
	v_rndne_f32_e32 v76, v39
	v_fma_f32 v83, 0x3fb8aa3b, v60, -v43
	v_rndne_f32_e32 v88, v45
	v_fma_f32 v91, 0x3fb8aa3b, v64, -v47
	v_dual_add_f32 v38, v38, v73 :: v_dual_add_f32 v37, v37, v71
	v_sub_f32_e32 v40, v40, v78
	v_rndne_f32_e32 v71, v47
	v_fmac_f32_e32 v77, 0x32a5705f, v57
	v_add_f32_e32 v79, v41, v79
	v_dual_sub_f32 v41, v42, v82 :: v_dual_sub_f32 v42, v43, v84
	v_fmac_f32_e32 v85, 0x32a5705f, v61
	v_sub_f32_e32 v43, v44, v86
	v_dual_fmac_f32 v75, 0x32a5705f, v56 :: v_dual_sub_f32 v44, v46, v90
	v_sub_f32_e32 v39, v39, v76
	v_fmac_f32_e32 v89, 0x32a5705f, v63
	s_delay_alu instid0(VALU_DEP_4)
	v_add_f32_e32 v85, v43, v85
	v_sub_f32_e32 v43, v45, v88
	v_fmac_f32_e32 v91, 0x32a5705f, v64
	v_fma_f32 v73, 0x3fb8aa3b, v65, -v48
	v_rndne_f32_e32 v92, v50
	v_add_f32_e32 v39, v39, v75
	v_rndne_f32_e32 v75, v48
	v_fmac_f32_e32 v81, 0x32a5705f, v59
	v_add_f32_e32 v46, v43, v87
	v_rndne_f32_e32 v87, v52
	v_fma_f32 v43, 0x3fb8aa3b, v69, -v70
	v_sub_f32_e32 v48, v48, v75
	v_exp_f32_e32 v38, v38
	v_rndne_f32_e32 v93, v51
	v_exp_f32_e32 v46, v46
	v_fmac_f32_e32 v43, 0x32a5705f, v69
	v_exp_f32_e32 v37, v37
	v_cmp_ngt_f32_e32 vcc_lo, 0xc2ce8ed0, v54
	v_cvt_i32_f32_e32 v75, v75
	s_waitcnt vmcnt(0)
	v_dual_mul_f32 v36, v36, v53 :: v_dual_sub_f32 v45, v47, v71
	v_add_f32_e32 v47, v44, v89
	v_cvt_i32_f32_e32 v44, v72
	v_cvt_i32_f32_e32 v72, v76
	s_waitcnt lgkmcnt(3)
	v_dual_mul_f32 v18, v36, v18 :: v_dual_add_f32 v89, v45, v91
	v_rndne_f32_e32 v91, v70
	v_fmac_f32_e32 v83, 0x32a5705f, v60
	v_fmac_f32_e32 v73, 0x32a5705f, v65
	v_cvt_i32_f32_e32 v45, v74
	v_exp_f32_e32 v47, v47
	v_sub_f32_e32 v70, v70, v91
	v_add_f32_e32 v83, v42, v83
	v_fma_f32 v42, 0x3fb8aa3b, v68, -v52
	v_add_f32_e32 v77, v40, v77
	v_fma_f32 v40, 0x3fb8aa3b, v66, -v50
	v_sub_f32_e32 v50, v50, v92
	v_sub_f32_e32 v52, v52, v87
	v_dual_fmac_f32 v42, 0x32a5705f, v68 :: v_dual_add_f32 v81, v41, v81
	v_add_f32_e32 v70, v70, v43
	v_fma_f32 v41, 0x3fb8aa3b, v67, -v51
	v_dual_fmac_f32 v40, 0x32a5705f, v66 :: v_dual_add_f32 v73, v48, v73
	v_cvt_i32_f32_e32 v48, v80
	v_exp_f32_e32 v80, v85
	s_delay_alu instid0(VALU_DEP_3) | instskip(NEXT) | instid1(VALU_DEP_3)
	v_dual_fmac_f32 v41, 0x32a5705f, v67 :: v_dual_mul_f32 v20, v36, v20
	v_dual_sub_f32 v51, v51, v93 :: v_dual_add_f32 v74, v50, v40
	v_add_f32_e32 v94, v52, v42
	v_ldexp_f32 v96, v38, v45
	v_cvt_i32_f32_e32 v45, v78
	v_cvt_i32_f32_e32 v50, v82
	v_exp_f32_e32 v52, v77
	v_exp_f32_e32 v77, v79
	;; [unrolled: 1-line block ×4, first 2 shown]
	v_cvt_i32_f32_e32 v81, v86
	v_cvt_i32_f32_e32 v82, v88
	;; [unrolled: 1-line block ×3, first 2 shown]
	v_add_f32_e32 v76, v51, v41
	v_exp_f32_e32 v39, v39
	v_ldexp_f32 v80, v80, v81
	v_ldexp_f32 v81, v46, v82
	;; [unrolled: 1-line block ×3, first 2 shown]
	v_exp_f32_e32 v83, v89
	v_ldexp_f32 v95, v37, v44
	v_cvt_i32_f32_e32 v71, v71
	v_exp_f32_e32 v73, v73
	v_exp_f32_e32 v76, v76
	;; [unrolled: 1-line block ×3, first 2 shown]
	v_cvt_i32_f32_e32 v88, v93
	v_cvt_i32_f32_e32 v87, v87
	v_ldexp_f32 v72, v39, v72
	v_cvt_i32_f32_e32 v51, v84
	v_ldexp_f32 v71, v83, v71
	v_cndmask_b32_e32 v83, 0, v95, vcc_lo
	v_cmp_ngt_f32_e32 vcc_lo, 0xc2ce8ed0, v55
	v_ldexp_f32 v73, v73, v75
	v_ldexp_f32 v75, v76, v88
	;; [unrolled: 1-line block ×4, first 2 shown]
	v_cndmask_b32_e32 v85, 0, v96, vcc_lo
	v_cmp_ngt_f32_e32 vcc_lo, 0xc2ce8ed0, v56
	v_ldexp_f32 v77, v77, v48
	v_ldexp_f32 v78, v78, v50
	;; [unrolled: 1-line block ×3, first 2 shown]
	v_exp_f32_e32 v74, v74
	v_cndmask_b32_e32 v72, 0, v72, vcc_lo
	v_cmp_ngt_f32_e32 vcc_lo, 0xc2ce8ed0, v57
	v_cvt_i32_f32_e32 v86, v92
	v_exp_f32_e32 v70, v70
	v_cvt_i32_f32_e32 v89, v91
	ds_load_b128 v[37:40], v49 offset:64
	ds_load_b128 v[41:44], v49 offset:80
	v_cndmask_b32_e32 v84, 0, v84, vcc_lo
	v_cmp_ngt_f32_e32 vcc_lo, 0xc2ce8ed0, v58
	ds_load_b128 v[45:48], v49 offset:96
	ds_load_b128 v[49:52], v49 offset:112
	v_ldexp_f32 v74, v74, v86
	v_cndmask_b32_e32 v77, 0, v77, vcc_lo
	v_cmp_ngt_f32_e32 vcc_lo, 0xc2ce8ed0, v59
	v_ldexp_f32 v70, v70, v89
	v_dual_mul_f32 v19, v36, v19 :: v_dual_cndmask_b32 v78, 0, v78
	v_cmp_ngt_f32_e32 vcc_lo, 0xc2ce8ed0, v60
	v_cndmask_b32_e32 v79, 0, v79, vcc_lo
	v_cmp_ngt_f32_e32 vcc_lo, 0xc2ce8ed0, v61
	v_dual_mul_f32 v21, v36, v21 :: v_dual_cndmask_b32 v80, 0, v80
	v_cmp_ngt_f32_e32 vcc_lo, 0xc2ce8ed0, v62
	v_cndmask_b32_e32 v81, 0, v81, vcc_lo
	v_cmp_ngt_f32_e32 vcc_lo, 0xc2ce8ed0, v63
	v_cndmask_b32_e32 v82, 0, v82, vcc_lo
	;; [unrolled: 2-line block ×7, first 2 shown]
	v_cmp_nlt_f32_e32 vcc_lo, 0x42b17218, v54
	v_cndmask_b32_e32 v54, 0x7f800000, v83, vcc_lo
	v_cmp_ngt_f32_e32 vcc_lo, 0xc2ce8ed0, v69
	s_delay_alu instid0(VALU_DEP_2) | instskip(SKIP_3) | instid1(VALU_DEP_3)
	v_fmac_f32_e32 v18, v14, v54
	v_cndmask_b32_e32 v70, 0, v70, vcc_lo
	v_cmp_nlt_f32_e32 vcc_lo, 0x42b17218, v55
	s_waitcnt lgkmcnt(3)
	v_fma_f32 v37, v37, v18, 0
	v_cndmask_b32_e32 v55, 0x7f800000, v85, vcc_lo
	v_cmp_nlt_f32_e32 vcc_lo, 0x42b17218, v56
	s_delay_alu instid0(VALU_DEP_2) | instskip(SKIP_1) | instid1(VALU_DEP_2)
	v_dual_fmac_f32 v19, v15, v55 :: v_dual_cndmask_b32 v14, 0x7f800000, v72
	v_cmp_nlt_f32_e32 vcc_lo, 0x42b17218, v57
	v_dual_fmac_f32 v20, v16, v14 :: v_dual_cndmask_b32 v15, 0x7f800000, v84
	v_cmp_nlt_f32_e32 vcc_lo, 0x42b17218, v58
	s_delay_alu instid0(VALU_DEP_2) | instskip(SKIP_2) | instid1(VALU_DEP_2)
	v_dual_mul_f32 v14, v36, v22 :: v_dual_fmac_f32 v21, v17, v15
	v_cndmask_b32_e32 v16, 0x7f800000, v77, vcc_lo
	v_cmp_nlt_f32_e32 vcc_lo, 0x42b17218, v59
	v_dual_mul_f32 v15, v36, v23 :: v_dual_fmac_f32 v14, v10, v16
	v_cndmask_b32_e32 v17, 0x7f800000, v78, vcc_lo
	v_cmp_nlt_f32_e32 vcc_lo, 0x42b17218, v60
	s_delay_alu instid0(VALU_DEP_2) | instskip(SKIP_3) | instid1(VALU_DEP_3)
	v_dual_mul_f32 v16, v36, v24 :: v_dual_fmac_f32 v15, v11, v17
	v_cndmask_b32_e32 v10, 0x7f800000, v79, vcc_lo
	v_cmp_nlt_f32_e32 vcc_lo, 0x42b17218, v61
	v_mul_f32_e32 v17, v36, v25
	v_dual_fmac_f32 v16, v12, v10 :: v_dual_cndmask_b32 v11, 0x7f800000, v80
	v_cmp_nlt_f32_e32 vcc_lo, 0x42b17218, v62
	s_delay_alu instid0(VALU_DEP_2) | instskip(SKIP_2) | instid1(VALU_DEP_2)
	v_dual_mul_f32 v10, v36, v26 :: v_dual_fmac_f32 v17, v13, v11
	v_cndmask_b32_e32 v12, 0x7f800000, v81, vcc_lo
	v_cmp_nlt_f32_e32 vcc_lo, 0x42b17218, v63
	v_dual_mul_f32 v11, v36, v27 :: v_dual_fmac_f32 v10, v6, v12
	v_cndmask_b32_e32 v13, 0x7f800000, v82, vcc_lo
	v_cmp_nlt_f32_e32 vcc_lo, 0x42b17218, v64
	s_delay_alu instid0(VALU_DEP_2) | instskip(SKIP_3) | instid1(VALU_DEP_3)
	v_dual_mul_f32 v12, v36, v28 :: v_dual_fmac_f32 v11, v7, v13
	v_cndmask_b32_e32 v6, 0x7f800000, v71, vcc_lo
	v_cmp_nlt_f32_e32 vcc_lo, 0x42b17218, v65
	v_mul_f32_e32 v13, v36, v29
	v_dual_fmac_f32 v12, v8, v6 :: v_dual_cndmask_b32 v7, 0x7f800000, v73
	v_cmp_nlt_f32_e32 vcc_lo, 0x42b17218, v66
	v_dual_fmac_f32 v37, v38, v19 :: v_dual_mul_f32 v6, v36, v30
	s_delay_alu instid0(VALU_DEP_3) | instskip(SKIP_1) | instid1(VALU_DEP_3)
	v_dual_fmac_f32 v13, v9, v7 :: v_dual_cndmask_b32 v8, 0x7f800000, v74
	v_cmp_nlt_f32_e32 vcc_lo, 0x42b17218, v67
	v_fmac_f32_e32 v37, v39, v20
	s_delay_alu instid0(VALU_DEP_3) | instskip(SKIP_2) | instid1(VALU_DEP_2)
	v_dual_mul_f32 v7, v36, v31 :: v_dual_fmac_f32 v6, v2, v8
	v_cndmask_b32_e32 v9, 0x7f800000, v75, vcc_lo
	v_cmp_nlt_f32_e32 vcc_lo, 0x42b17218, v68
	v_dual_mul_f32 v8, v36, v32 :: v_dual_fmac_f32 v7, v3, v9
	v_cndmask_b32_e32 v2, 0x7f800000, v53, vcc_lo
	v_fmac_f32_e32 v37, v40, v21
	v_cmp_nlt_f32_e32 vcc_lo, 0x42b17218, v69
	v_mul_f32_e32 v9, v36, v33
	s_delay_alu instid0(VALU_DEP_4)
	v_fmac_f32_e32 v8, v4, v2
	s_waitcnt lgkmcnt(2)
	v_fmac_f32_e32 v37, v41, v14
	v_cndmask_b32_e32 v3, 0x7f800000, v70, vcc_lo
	v_add_co_u32 v0, vcc_lo, s2, v0
	v_add_co_ci_u32_e32 v1, vcc_lo, s3, v1, vcc_lo
	s_delay_alu instid0(VALU_DEP_4) | instskip(NEXT) | instid1(VALU_DEP_4)
	v_fmac_f32_e32 v37, v42, v15
	v_fmac_f32_e32 v9, v5, v3
	v_add_co_u32 v2, vcc_lo, s0, v34
	v_add_co_ci_u32_e32 v3, vcc_lo, s1, v35, vcc_lo
	s_delay_alu instid0(VALU_DEP_4) | instskip(NEXT) | instid1(VALU_DEP_1)
	v_fmac_f32_e32 v37, v43, v16
	v_fmac_f32_e32 v37, v44, v17
	s_waitcnt lgkmcnt(1)
	s_delay_alu instid0(VALU_DEP_1) | instskip(NEXT) | instid1(VALU_DEP_1)
	v_fmac_f32_e32 v37, v45, v10
	v_fmac_f32_e32 v37, v46, v11
	s_delay_alu instid0(VALU_DEP_1) | instskip(NEXT) | instid1(VALU_DEP_1)
	v_fmac_f32_e32 v37, v47, v12
	v_fmac_f32_e32 v37, v48, v13
	s_waitcnt lgkmcnt(0)
	s_delay_alu instid0(VALU_DEP_1) | instskip(NEXT) | instid1(VALU_DEP_1)
	v_fmac_f32_e32 v37, v49, v6
	v_fmac_f32_e32 v37, v50, v7
	s_delay_alu instid0(VALU_DEP_1) | instskip(NEXT) | instid1(VALU_DEP_1)
	v_fmac_f32_e32 v37, v51, v8
	v_fmac_f32_e32 v37, v52, v9
	global_store_b32 v[0:1], v37, off
	s_waitcnt_vscnt null, 0x0
	s_barrier
	buffer_gl0_inv
	s_clause 0x3
	global_store_b128 v[2:3], v[18:21], off
	global_store_b128 v[2:3], v[14:17], off offset:16
	global_store_b128 v[2:3], v[10:13], off offset:32
	;; [unrolled: 1-line block ×3, first 2 shown]
	s_nop 0
	s_sendmsg sendmsg(MSG_DEALLOC_VGPRS)
	s_endpgm
	.section	.rodata,"a",@progbits
	.p2align	6, 0x0
	.amdhsa_kernel _Z12ssm_scan_f32ILm128ELm16ELm1EEvPKfS1_S1_S1_S1_S1_PKiPfiiiiiiiiiiilll
		.amdhsa_group_segment_fixed_size 128
		.amdhsa_private_segment_fixed_size 0
		.amdhsa_kernarg_size 136
		.amdhsa_user_sgpr_count 14
		.amdhsa_user_sgpr_dispatch_ptr 0
		.amdhsa_user_sgpr_queue_ptr 0
		.amdhsa_user_sgpr_kernarg_segment_ptr 1
		.amdhsa_user_sgpr_dispatch_id 0
		.amdhsa_user_sgpr_private_segment_size 0
		.amdhsa_wavefront_size32 1
		.amdhsa_uses_dynamic_stack 0
		.amdhsa_enable_private_segment 0
		.amdhsa_system_sgpr_workgroup_id_x 1
		.amdhsa_system_sgpr_workgroup_id_y 1
		.amdhsa_system_sgpr_workgroup_id_z 0
		.amdhsa_system_sgpr_workgroup_info 0
		.amdhsa_system_vgpr_workitem_id 0
		.amdhsa_next_free_vgpr 97
		.amdhsa_next_free_sgpr 32
		.amdhsa_reserve_vcc 1
		.amdhsa_float_round_mode_32 0
		.amdhsa_float_round_mode_16_64 0
		.amdhsa_float_denorm_mode_32 3
		.amdhsa_float_denorm_mode_16_64 3
		.amdhsa_dx10_clamp 1
		.amdhsa_ieee_mode 1
		.amdhsa_fp16_overflow 0
		.amdhsa_workgroup_processor_mode 1
		.amdhsa_memory_ordered 1
		.amdhsa_forward_progress 0
		.amdhsa_shared_vgpr_count 0
		.amdhsa_exception_fp_ieee_invalid_op 0
		.amdhsa_exception_fp_denorm_src 0
		.amdhsa_exception_fp_ieee_div_zero 0
		.amdhsa_exception_fp_ieee_overflow 0
		.amdhsa_exception_fp_ieee_underflow 0
		.amdhsa_exception_fp_ieee_inexact 0
		.amdhsa_exception_int_div_zero 0
	.end_amdhsa_kernel
	.section	.text._Z12ssm_scan_f32ILm128ELm16ELm1EEvPKfS1_S1_S1_S1_S1_PKiPfiiiiiiiiiiilll,"axG",@progbits,_Z12ssm_scan_f32ILm128ELm16ELm1EEvPKfS1_S1_S1_S1_S1_PKiPfiiiiiiiiiiilll,comdat
.Lfunc_end2:
	.size	_Z12ssm_scan_f32ILm128ELm16ELm1EEvPKfS1_S1_S1_S1_S1_PKiPfiiiiiiiiiiilll, .Lfunc_end2-_Z12ssm_scan_f32ILm128ELm16ELm1EEvPKfS1_S1_S1_S1_S1_PKiPfiiiiiiiiiiilll
                                        ; -- End function
	.section	.AMDGPU.csdata,"",@progbits
; Kernel info:
; codeLenInByte = 3312
; NumSgprs: 34
; NumVgprs: 97
; ScratchSize: 0
; MemoryBound: 0
; FloatMode: 240
; IeeeMode: 1
; LDSByteSize: 128 bytes/workgroup (compile time only)
; SGPRBlocks: 4
; VGPRBlocks: 12
; NumSGPRsForWavesPerEU: 34
; NumVGPRsForWavesPerEU: 97
; Occupancy: 12
; WaveLimiterHint : 1
; COMPUTE_PGM_RSRC2:SCRATCH_EN: 0
; COMPUTE_PGM_RSRC2:USER_SGPR: 14
; COMPUTE_PGM_RSRC2:TRAP_HANDLER: 0
; COMPUTE_PGM_RSRC2:TGID_X_EN: 1
; COMPUTE_PGM_RSRC2:TGID_Y_EN: 1
; COMPUTE_PGM_RSRC2:TGID_Z_EN: 0
; COMPUTE_PGM_RSRC2:TIDIG_COMP_CNT: 0
	.section	.text._Z12ssm_scan_f32ILm128ELm16ELm2EEvPKfS1_S1_S1_S1_S1_PKiPfiiiiiiiiiiilll,"axG",@progbits,_Z12ssm_scan_f32ILm128ELm16ELm2EEvPKfS1_S1_S1_S1_S1_PKiPfiiiiiiiiiiilll,comdat
	.protected	_Z12ssm_scan_f32ILm128ELm16ELm2EEvPKfS1_S1_S1_S1_S1_PKiPfiiiiiiiiiiilll ; -- Begin function _Z12ssm_scan_f32ILm128ELm16ELm2EEvPKfS1_S1_S1_S1_S1_PKiPfiiiiiiiiiiilll
	.globl	_Z12ssm_scan_f32ILm128ELm16ELm2EEvPKfS1_S1_S1_S1_S1_PKiPfiiiiiiiiiiilll
	.p2align	8
	.type	_Z12ssm_scan_f32ILm128ELm16ELm2EEvPKfS1_S1_S1_S1_S1_PKiPfiiiiiiiiiiilll,@function
_Z12ssm_scan_f32ILm128ELm16ELm2EEvPKfS1_S1_S1_S1_S1_PKiPfiiiiiiiiiiilll: ; @_Z12ssm_scan_f32ILm128ELm16ELm2EEvPKfS1_S1_S1_S1_S1_PKiPfiiiiiiiiiiilll
; %bb.0:
	s_load_b512 s[16:31], s[0:1], 0x0
	s_mov_b32 s2, s15
	s_mov_b32 s15, 0
	v_lshlrev_b32_e32 v42, 2, v0
	s_lshl_b64 s[4:5], s[14:15], 2
	v_mov_b32_e32 v2, 0
	s_load_b128 s[36:39], s[0:1], 0x60
	s_delay_alu instid0(VALU_DEP_2)
	v_add_nc_u32_e32 v43, 64, v42
	s_waitcnt lgkmcnt(0)
	s_add_u32 s12, s28, s4
	s_addc_u32 s13, s29, s5
	s_load_b256 s[4:11], s[0:1], 0x40
	s_load_b32 s3, s[12:13], 0x0
	s_waitcnt lgkmcnt(0)
	s_mul_i32 s3, s3, s5
	s_delay_alu instid0(SALU_CYCLE_1)
	s_ashr_i32 s12, s3, 31
	s_add_u32 s3, s16, s3
	s_addc_u32 s12, s17, s12
	s_lshl_b32 s13, s2, 7
	s_ashr_i32 s16, s4, 31
	s_lshr_b32 s17, s2, 25
	s_mul_i32 s16, s13, s16
	s_mul_hi_u32 s28, s13, s4
	s_mul_i32 s33, s17, s4
	s_add_i32 s16, s28, s16
	s_mul_i32 s29, s13, s4
	s_add_i32 s28, s16, s33
	s_add_u32 s3, s3, s29
	s_addc_u32 s12, s12, s28
	s_ashr_i32 s16, s10, 31
	s_mul_hi_u32 s33, s13, s10
	s_mul_i32 s16, s13, s16
	s_mul_i32 s17, s17, s10
	s_add_i32 s16, s33, s16
	s_mul_i32 s13, s13, s10
	s_add_i32 s16, s16, s17
	s_add_u32 s13, s22, s13
	s_addc_u32 s16, s23, s16
	s_ashr_i32 s10, s10, 2
	s_ashr_i32 s4, s4, 2
	v_mul_lo_u32 v1, s10, v0
	s_delay_alu instid0(VALU_DEP_1) | instskip(SKIP_2) | instid1(VALU_DEP_2)
	v_lshlrev_b64 v[3:4], 2, v[1:2]
	v_mul_lo_u32 v1, s4, v0
	s_mul_i32 s4, s14, s38
	v_add_co_u32 v13, vcc_lo, s13, v3
	s_delay_alu instid0(VALU_DEP_3) | instskip(NEXT) | instid1(VALU_DEP_3)
	v_add_co_ci_u32_e32 v14, vcc_lo, s16, v4, vcc_lo
	v_lshlrev_b64 v[33:34], 2, v[1:2]
	s_delay_alu instid0(VALU_DEP_1) | instskip(NEXT) | instid1(VALU_DEP_2)
	v_add_co_u32 v29, vcc_lo, s3, v33
	v_add_co_ci_u32_e32 v30, vcc_lo, s12, v34, vcc_lo
	s_clause 0x3
	global_load_b128 v[1:4], v[13:14], off offset:48
	global_load_b128 v[5:8], v[13:14], off offset:32
	;; [unrolled: 1-line block ×3, first 2 shown]
	global_load_b128 v[13:16], v[13:14], off
	s_clause 0x3
	global_load_b128 v[17:20], v[29:30], off offset:48
	global_load_b128 v[21:24], v[29:30], off offset:32
	;; [unrolled: 1-line block ×3, first 2 shown]
	global_load_b128 v[29:32], v[29:30], off
	s_mul_i32 s3, s14, s36
	v_cmp_gt_u32_e32 vcc_lo, 16, v0
	s_add_u32 s3, s24, s3
	s_addc_u32 s10, s25, 0
	s_add_u32 s4, s26, s4
	v_add_co_u32 v37, s3, s3, v42
	s_addc_u32 s12, s27, 0
	v_add_co_ci_u32_e64 v38, null, s10, 0, s3
	v_add_co_u32 v35, s3, s4, v42
	s_delay_alu instid0(VALU_DEP_1)
	v_add_co_ci_u32_e64 v36, null, s12, 0, s3
	s_mov_b32 s3, s15
	s_and_saveexec_b32 s4, vcc_lo
	s_cbranch_execz .LBB3_2
; %bb.1:
	global_load_b32 v0, v[37:38], off
	global_load_b32 v39, v[35:36], off
	s_waitcnt vmcnt(1)
	ds_store_b32 v42, v0
	s_waitcnt vmcnt(0)
	ds_store_b32 v43, v39
.LBB3_2:
	s_or_b32 exec_lo, exec_lo, s4
	s_mul_i32 s4, s14, s9
	s_lshl_b64 s[12:13], s[2:3], 9
	s_add_u32 s2, s20, s4
	s_addc_u32 s3, s21, 0
	s_add_u32 s2, s2, s12
	s_addc_u32 s3, s3, s13
	s_waitcnt vmcnt(0) lgkmcnt(0)
	s_barrier
	buffer_gl0_inv
	global_load_b32 v0, v42, s[2:3]
	v_add_co_u32 v44, s2, s2, v42
	s_delay_alu instid0(VALU_DEP_1)
	v_add_co_ci_u32_e64 v45, null, s3, 0, s2
	s_mov_b32 s4, exec_lo
	s_waitcnt vmcnt(0)
	v_cmpx_ge_f32_e32 0x41a00000, v0
	s_cbranch_execz .LBB3_4
; %bb.3:
	v_mul_f32_e32 v39, 0x3fb8aa3b, v0
	v_cmp_ngt_f32_e64 s2, 0xc2ce8ed0, v0
	s_delay_alu instid0(VALU_DEP_2) | instskip(SKIP_1) | instid1(VALU_DEP_2)
	v_rndne_f32_e32 v40, v39
	v_fma_f32 v41, 0x3fb8aa3b, v0, -v39
	v_sub_f32_e32 v39, v39, v40
	s_delay_alu instid0(VALU_DEP_2) | instskip(SKIP_1) | instid1(VALU_DEP_2)
	v_fmamk_f32 v41, v0, 0x32a5705f, v41
	v_cvt_i32_f32_e32 v40, v40
	v_add_f32_e32 v39, v39, v41
	s_delay_alu instid0(VALU_DEP_1) | instskip(SKIP_2) | instid1(VALU_DEP_1)
	v_exp_f32_e32 v39, v39
	s_waitcnt_depctr 0xfff
	v_ldexp_f32 v39, v39, v40
	v_cndmask_b32_e64 v39, 0, v39, s2
	v_cmp_nlt_f32_e64 s2, 0x42b17218, v0
	s_delay_alu instid0(VALU_DEP_1) | instskip(NEXT) | instid1(VALU_DEP_1)
	v_cndmask_b32_e64 v0, 0x7f800000, v39, s2
	v_add_f32_e32 v41, 1.0, v0
	v_cmp_gt_f32_e64 s3, 0x33800000, v0
	s_delay_alu instid0(VALU_DEP_2) | instskip(NEXT) | instid1(VALU_DEP_1)
	v_cvt_f64_f32_e32 v[39:40], v41
	v_frexp_exp_i32_f64_e32 v39, v[39:40]
	v_frexp_mant_f32_e32 v40, v41
	s_delay_alu instid0(VALU_DEP_1) | instskip(SKIP_1) | instid1(VALU_DEP_1)
	v_cmp_gt_f32_e64 s2, 0x3f2aaaab, v40
	v_add_f32_e32 v40, -1.0, v41
	v_sub_f32_e32 v47, v40, v41
	s_delay_alu instid0(VALU_DEP_1) | instskip(NEXT) | instid1(VALU_DEP_1)
	v_dual_sub_f32 v40, v0, v40 :: v_dual_add_f32 v47, 1.0, v47
	v_add_f32_e32 v40, v40, v47
	v_subrev_co_ci_u32_e64 v39, s2, 0, v39, s2
	s_mov_b32 s2, 0x3e9b6dac
	s_delay_alu instid0(VALU_DEP_1) | instskip(SKIP_1) | instid1(VALU_DEP_2)
	v_sub_nc_u32_e32 v46, 0, v39
	v_cvt_f32_i32_e32 v39, v39
	v_ldexp_f32 v41, v41, v46
	v_ldexp_f32 v40, v40, v46
	s_delay_alu instid0(VALU_DEP_2) | instskip(NEXT) | instid1(VALU_DEP_1)
	v_add_f32_e32 v46, -1.0, v41
	v_dual_add_f32 v48, 1.0, v41 :: v_dual_add_f32 v49, 1.0, v46
	s_delay_alu instid0(VALU_DEP_1) | instskip(NEXT) | instid1(VALU_DEP_1)
	v_add_f32_e32 v47, -1.0, v48
	v_sub_f32_e32 v47, v41, v47
	s_delay_alu instid0(VALU_DEP_3) | instskip(NEXT) | instid1(VALU_DEP_2)
	v_sub_f32_e32 v41, v41, v49
	v_add_f32_e32 v47, v40, v47
	s_delay_alu instid0(VALU_DEP_2) | instskip(NEXT) | instid1(VALU_DEP_1)
	v_add_f32_e32 v40, v40, v41
	v_dual_add_f32 v50, v46, v40 :: v_dual_add_f32 v49, v48, v47
	s_delay_alu instid0(VALU_DEP_1) | instskip(NEXT) | instid1(VALU_DEP_2)
	v_sub_f32_e32 v46, v46, v50
	v_rcp_f32_e32 v41, v49
	v_sub_f32_e32 v48, v48, v49
	s_delay_alu instid0(VALU_DEP_1) | instskip(SKIP_2) | instid1(VALU_DEP_1)
	v_dual_add_f32 v40, v40, v46 :: v_dual_add_f32 v47, v47, v48
	s_waitcnt_depctr 0xfff
	v_mul_f32_e32 v51, v50, v41
	v_mul_f32_e32 v52, v49, v51
	s_delay_alu instid0(VALU_DEP_1) | instskip(NEXT) | instid1(VALU_DEP_1)
	v_fma_f32 v48, v51, v49, -v52
	v_fmac_f32_e32 v48, v51, v47
	s_delay_alu instid0(VALU_DEP_1) | instskip(NEXT) | instid1(VALU_DEP_1)
	v_add_f32_e32 v53, v52, v48
	v_sub_f32_e32 v54, v50, v53
	s_delay_alu instid0(VALU_DEP_1) | instskip(NEXT) | instid1(VALU_DEP_1)
	v_sub_f32_e32 v50, v50, v54
	v_sub_f32_e32 v50, v50, v53
	;; [unrolled: 1-line block ×3, first 2 shown]
	s_delay_alu instid0(VALU_DEP_2) | instskip(NEXT) | instid1(VALU_DEP_2)
	v_add_f32_e32 v40, v40, v50
	v_sub_f32_e32 v46, v46, v48
	s_delay_alu instid0(VALU_DEP_1) | instskip(NEXT) | instid1(VALU_DEP_1)
	v_add_f32_e32 v40, v46, v40
	v_add_f32_e32 v46, v54, v40
	s_delay_alu instid0(VALU_DEP_1) | instskip(NEXT) | instid1(VALU_DEP_1)
	v_mul_f32_e32 v48, v41, v46
	v_dual_sub_f32 v53, v54, v46 :: v_dual_mul_f32 v50, v49, v48
	s_delay_alu instid0(VALU_DEP_1) | instskip(NEXT) | instid1(VALU_DEP_2)
	v_add_f32_e32 v40, v40, v53
	v_fma_f32 v49, v48, v49, -v50
	s_delay_alu instid0(VALU_DEP_1) | instskip(NEXT) | instid1(VALU_DEP_1)
	v_fmac_f32_e32 v49, v48, v47
	v_add_f32_e32 v47, v50, v49
	s_delay_alu instid0(VALU_DEP_1) | instskip(NEXT) | instid1(VALU_DEP_1)
	v_sub_f32_e32 v52, v46, v47
	v_sub_f32_e32 v46, v46, v52
	s_delay_alu instid0(VALU_DEP_1) | instskip(NEXT) | instid1(VALU_DEP_1)
	v_sub_f32_e32 v46, v46, v47
	v_add_f32_e32 v40, v40, v46
	v_add_f32_e32 v46, v51, v48
	v_sub_f32_e32 v50, v47, v50
	s_delay_alu instid0(VALU_DEP_1) | instskip(NEXT) | instid1(VALU_DEP_1)
	v_sub_f32_e32 v47, v50, v49
	v_dual_add_f32 v40, v47, v40 :: v_dual_sub_f32 v47, v46, v51
	s_delay_alu instid0(VALU_DEP_1) | instskip(NEXT) | instid1(VALU_DEP_1)
	v_add_f32_e32 v40, v52, v40
	v_dual_sub_f32 v47, v48, v47 :: v_dual_mul_f32 v40, v41, v40
	s_delay_alu instid0(VALU_DEP_1) | instskip(NEXT) | instid1(VALU_DEP_1)
	v_add_f32_e32 v40, v47, v40
	v_add_f32_e32 v41, v46, v40
	s_delay_alu instid0(VALU_DEP_1) | instskip(NEXT) | instid1(VALU_DEP_1)
	v_mul_f32_e32 v47, v41, v41
	v_fmaak_f32 v48, s2, v47, 0x3ecc95a3
	v_mul_f32_e32 v49, v41, v47
	v_cmp_eq_f32_e64 s2, 0x7f800000, v0
	s_delay_alu instid0(VALU_DEP_3) | instskip(SKIP_2) | instid1(VALU_DEP_4)
	v_fmaak_f32 v47, v47, v48, 0x3f2aaada
	v_ldexp_f32 v48, v41, 1
	v_sub_f32_e32 v41, v41, v46
	s_or_b32 s2, s3, s2
	s_delay_alu instid0(VALU_DEP_3) | instskip(SKIP_1) | instid1(VALU_DEP_2)
	v_mul_f32_e32 v47, v49, v47
	v_mul_f32_e32 v49, 0x3f317218, v39
	v_add_f32_e32 v46, v48, v47
	s_delay_alu instid0(VALU_DEP_1) | instskip(NEXT) | instid1(VALU_DEP_3)
	v_dual_sub_f32 v40, v40, v41 :: v_dual_sub_f32 v41, v46, v48
	v_fma_f32 v48, 0x3f317218, v39, -v49
	s_delay_alu instid0(VALU_DEP_2) | instskip(NEXT) | instid1(VALU_DEP_3)
	v_ldexp_f32 v40, v40, 1
	v_sub_f32_e32 v41, v47, v41
	s_delay_alu instid0(VALU_DEP_1) | instskip(NEXT) | instid1(VALU_DEP_1)
	v_dual_fmamk_f32 v39, v39, 0xb102e308, v48 :: v_dual_add_f32 v40, v40, v41
	v_add_f32_e32 v41, v49, v39
	s_delay_alu instid0(VALU_DEP_1) | instskip(NEXT) | instid1(VALU_DEP_1)
	v_sub_f32_e32 v49, v41, v49
	v_sub_f32_e32 v39, v39, v49
	s_delay_alu instid0(VALU_DEP_4) | instskip(NEXT) | instid1(VALU_DEP_1)
	v_add_f32_e32 v47, v46, v40
	v_add_f32_e32 v48, v41, v47
	v_sub_f32_e32 v46, v47, v46
	s_delay_alu instid0(VALU_DEP_2) | instskip(NEXT) | instid1(VALU_DEP_1)
	v_sub_f32_e32 v50, v48, v41
	v_sub_f32_e32 v51, v48, v50
	s_delay_alu instid0(VALU_DEP_1) | instskip(SKIP_1) | instid1(VALU_DEP_1)
	v_dual_sub_f32 v41, v41, v51 :: v_dual_sub_f32 v40, v40, v46
	v_sub_f32_e32 v46, v47, v50
	v_add_f32_e32 v41, v46, v41
	s_delay_alu instid0(VALU_DEP_3) | instskip(NEXT) | instid1(VALU_DEP_1)
	v_add_f32_e32 v47, v39, v40
	v_sub_f32_e32 v46, v47, v39
	s_delay_alu instid0(VALU_DEP_1) | instskip(SKIP_1) | instid1(VALU_DEP_2)
	v_dual_add_f32 v41, v47, v41 :: v_dual_sub_f32 v40, v40, v46
	v_sub_f32_e32 v47, v47, v46
	v_add_f32_e32 v49, v48, v41
	s_delay_alu instid0(VALU_DEP_1) | instskip(NEXT) | instid1(VALU_DEP_1)
	v_dual_sub_f32 v39, v39, v47 :: v_dual_sub_f32 v46, v49, v48
	v_dual_add_f32 v39, v40, v39 :: v_dual_sub_f32 v40, v41, v46
	s_delay_alu instid0(VALU_DEP_1) | instskip(NEXT) | instid1(VALU_DEP_1)
	v_add_f32_e32 v39, v39, v40
	v_add_f32_e32 v39, v49, v39
	s_delay_alu instid0(VALU_DEP_1)
	v_cndmask_b32_e64 v0, v39, v0, s2
.LBB3_4:
	s_or_b32 exec_lo, exec_lo, s4
	s_load_b128 s[20:23], s[0:1], 0x70
	s_delay_alu instid0(VALU_DEP_1) | instskip(SKIP_3) | instid1(VALU_DEP_4)
	v_dual_mul_f32 v40, v0, v13 :: v_dual_mov_b32 v47, 0
	v_mul_f32_e32 v46, v0, v9
	v_mul_f32_e32 v57, v0, v1
	;; [unrolled: 1-line block ×4, first 2 shown]
	s_delay_alu instid0(VALU_DEP_4) | instskip(SKIP_2) | instid1(VALU_DEP_4)
	v_dual_mul_f32 v50, v0, v12 :: v_dual_mul_f32 v65, 0x3fb8aa3b, v46
	v_mul_f32_e32 v53, v0, v16
	v_mul_f32_e32 v73, 0x3fb8aa3b, v57
	v_fma_f32 v77, 0x3fb8aa3b, v40, -v61
	s_delay_alu instid0(VALU_DEP_4) | instskip(NEXT) | instid1(VALU_DEP_4)
	v_mul_f32_e32 v68, 0x3fb8aa3b, v50
	v_dual_mul_f32 v41, v0, v14 :: v_dual_mul_f32 v64, 0x3fb8aa3b, v53
	v_mul_f32_e32 v51, v0, v15
	v_rndne_f32_e32 v78, v61
	v_mul_f32_e32 v72, 0x3fb8aa3b, v56
	s_delay_alu instid0(VALU_DEP_4) | instskip(NEXT) | instid1(VALU_DEP_4)
	v_mul_f32_e32 v62, 0x3fb8aa3b, v41
	v_dual_mul_f32 v48, v0, v10 :: v_dual_mul_f32 v63, 0x3fb8aa3b, v51
	s_waitcnt lgkmcnt(0)
	s_mul_i32 s1, s14, s23
	s_mul_hi_u32 s2, s14, s22
	s_mul_i32 s0, s14, s22
	s_add_i32 s1, s2, s1
	s_mul_i32 s2, s14, s7
	s_lshl_b64 s[0:1], s[0:1], 3
	v_dual_mul_f32 v49, v0, v11 :: v_dual_mul_f32 v66, 0x3fb8aa3b, v48
	s_add_u32 s4, s30, s0
	s_addc_u32 s3, s31, s1
	s_add_u32 s0, s18, s2
	s_addc_u32 s1, s19, 0
	;; [unrolled: 2-line block ×3, first 2 shown]
	v_dual_mul_f32 v54, v0, v6 :: v_dual_mul_f32 v67, 0x3fb8aa3b, v49
	global_load_b32 v39, v42, s[16:17]
	v_mul_f32_e32 v55, v0, v7
	v_fma_f32 v79, 0x3fb8aa3b, v41, -v62
	v_mul_f32_e32 v70, 0x3fb8aa3b, v54
	v_mul_f32_e32 v52, v0, v5
	v_rndne_f32_e32 v80, v62
	v_dual_mul_f32 v71, 0x3fb8aa3b, v55 :: v_dual_mul_f32 v58, v0, v2
	v_fma_f32 v82, 0x3fb8aa3b, v53, -v64
	s_delay_alu instid0(VALU_DEP_4)
	v_mul_f32_e32 v69, 0x3fb8aa3b, v52
	v_mul_f32_e32 v59, v0, v3
	v_rndne_f32_e32 v96, v64
	v_mul_f32_e32 v74, 0x3fb8aa3b, v58
	v_mul_f32_e32 v60, v0, v4
	v_dual_fmac_f32 v77, 0x32a5705f, v40 :: v_dual_fmac_f32 v82, 0x32a5705f, v53
	v_mul_f32_e32 v75, 0x3fb8aa3b, v59
	s_delay_alu instid0(VALU_DEP_3)
	v_dual_sub_f32 v61, v61, v78 :: v_dual_mul_f32 v76, 0x3fb8aa3b, v60
	v_dual_fmac_f32 v79, 0x32a5705f, v41 :: v_dual_sub_f32 v62, v62, v80
	v_fma_f32 v81, 0x3fb8aa3b, v51, -v63
	v_fma_f32 v83, 0x3fb8aa3b, v46, -v65
	;; [unrolled: 1-line block ×4, first 2 shown]
	v_rndne_f32_e32 v94, v63
	v_rndne_f32_e32 v97, v65
	;; [unrolled: 1-line block ×3, first 2 shown]
	v_add_f32_e32 v77, v61, v77
	v_dual_add_f32 v79, v62, v79 :: v_dual_fmac_f32 v84, 0x32a5705f, v48
	v_sub_f32_e32 v62, v64, v96
	v_fma_f32 v86, 0x3fb8aa3b, v50, -v68
	v_fma_f32 v88, 0x3fb8aa3b, v54, -v70
	;; [unrolled: 1-line block ×4, first 2 shown]
	v_rndne_f32_e32 v98, v66
	v_rndne_f32_e32 v100, v68
	v_dual_fmac_f32 v81, 0x32a5705f, v51 :: v_dual_add_f32 v82, v62, v82
	v_dual_sub_f32 v61, v63, v94 :: v_dual_fmac_f32 v90, 0x32a5705f, v56
	v_dual_fmac_f32 v83, 0x32a5705f, v46 :: v_dual_sub_f32 v62, v67, v99
	v_dual_sub_f32 v63, v65, v97 :: v_dual_fmac_f32 v86, 0x32a5705f, v50
	v_dual_fmac_f32 v85, 0x32a5705f, v49 :: v_dual_fmac_f32 v88, 0x32a5705f, v54
	v_fma_f32 v87, 0x3fb8aa3b, v52, -v69
	v_fma_f32 v89, 0x3fb8aa3b, v55, -v71
	;; [unrolled: 1-line block ×4, first 2 shown]
	v_rndne_f32_e32 v101, v69
	v_rndne_f32_e32 v102, v70
	;; [unrolled: 1-line block ×4, first 2 shown]
	v_add_f32_e32 v83, v63, v83
	v_rndne_f32_e32 v105, v73
	v_dual_sub_f32 v63, v68, v100 :: v_dual_fmac_f32 v92, 0x32a5705f, v58
	v_add_f32_e32 v81, v61, v81
	v_dual_sub_f32 v61, v66, v98 :: v_dual_sub_f32 v64, v72, v104
	v_rndne_f32_e32 v106, v74
	v_rndne_f32_e32 v107, v75
	;; [unrolled: 1-line block ×3, first 2 shown]
	s_delay_alu instid0(VALU_DEP_4) | instskip(SKIP_4) | instid1(VALU_DEP_2)
	v_dual_add_f32 v85, v62, v85 :: v_dual_add_f32 v84, v61, v84
	v_dual_add_f32 v86, v63, v86 :: v_dual_fmac_f32 v87, 0x32a5705f, v52
	v_dual_sub_f32 v62, v70, v102 :: v_dual_fmac_f32 v89, 0x32a5705f, v55
	v_dual_sub_f32 v66, v74, v106 :: v_dual_fmac_f32 v91, 0x32a5705f, v57
	v_dual_fmac_f32 v93, 0x32a5705f, v59 :: v_dual_add_f32 v90, v64, v90
	v_dual_sub_f32 v61, v69, v101 :: v_dual_add_f32 v92, v66, v92
	v_sub_f32_e32 v63, v71, v103
	v_sub_f32_e32 v65, v73, v105
	v_dual_sub_f32 v67, v75, v107 :: v_dual_sub_f32 v68, v76, v108
	v_exp_f32_e32 v75, v77
	v_exp_f32_e32 v77, v81
	;; [unrolled: 1-line block ×3, first 2 shown]
	v_fma_f32 v95, 0x3fb8aa3b, v60, -v76
	v_dual_add_f32 v87, v61, v87 :: v_dual_add_f32 v88, v62, v88
	v_add_f32_e32 v89, v63, v89
	v_add_f32_e32 v91, v65, v91
	v_add_f32_e32 v93, v67, v93
	v_exp_f32_e32 v76, v79
	v_exp_f32_e32 v79, v83
	v_cvt_i32_f32_e32 v83, v99
	v_cvt_i32_f32_e32 v69, v78
	v_cvt_i32_f32_e32 v71, v94
	v_cvt_i32_f32_e32 v70, v80
	v_exp_f32_e32 v78, v82
	v_ldexp_f32 v99, v81, v83
	v_exp_f32_e32 v83, v87
	v_exp_f32_e32 v87, v89
	;; [unrolled: 1-line block ×4, first 2 shown]
	v_ldexp_f32 v85, v75, v69
	v_ldexp_f32 v94, v77, v71
	v_cvt_i32_f32_e32 v93, v107
	v_cmp_ngt_f32_e64 s0, 0xc2ce8ed0, v51
	v_cmp_ngt_f32_e64 s1, 0xc2ce8ed0, v40
	v_cvt_i32_f32_e32 v72, v96
	v_exp_f32_e32 v82, v86
	v_ldexp_f32 v86, v76, v70
	v_exp_f32_e32 v80, v84
	v_ldexp_f32 v91, v91, v93
	v_cndmask_b32_e64 v93, 0, v94, s0
	v_cmp_nlt_f32_e64 s0, 0x42b17218, v51
	v_cndmask_b32_e64 v51, 0, v85, s1
	v_cmp_ngt_f32_e64 s1, 0xc2ce8ed0, v41
	v_ldexp_f32 v96, v78, v72
	v_cvt_i32_f32_e32 v84, v100
	v_cvt_i32_f32_e32 v73, v97
	v_cvt_i32_f32_e32 v74, v98
	v_cndmask_b32_e64 v85, 0, v86, s1
	v_cmp_ngt_f32_e64 s1, 0xc2ce8ed0, v53
	v_ldexp_f32 v100, v82, v84
	v_exp_f32_e32 v84, v88
	v_exp_f32_e32 v88, v90
	;; [unrolled: 1-line block ×3, first 2 shown]
	v_cndmask_b32_e64 v94, 0, v96, s1
	v_cmp_nlt_f32_e64 s1, 0x42b17218, v40
	v_ldexp_f32 v97, v79, v73
	v_ldexp_f32 v98, v80, v74
	v_cvt_i32_f32_e32 v77, v101
	v_cvt_i32_f32_e32 v78, v102
	v_cndmask_b32_e64 v51, 0x7f800000, v51, s1
	v_cmp_nlt_f32_e64 s1, 0x42b17218, v41
	v_cvt_i32_f32_e32 v79, v103
	v_cvt_i32_f32_e32 v80, v104
	;; [unrolled: 1-line block ×4, first 2 shown]
	v_cndmask_b32_e64 v85, 0x7f800000, v85, s1
	v_fmac_f32_e32 v95, 0x32a5705f, v60
	v_ldexp_f32 v101, v83, v77
	v_ldexp_f32 v102, v84, v78
	;; [unrolled: 1-line block ×4, first 2 shown]
	v_add_f32_e32 v95, v68, v95
	ds_load_b128 v[61:64], v47
	ds_load_b128 v[65:68], v47 offset:16
	ds_load_b128 v[69:72], v47 offset:32
	;; [unrolled: 1-line block ×3, first 2 shown]
	v_ldexp_f32 v89, v89, v81
	v_ldexp_f32 v90, v90, v82
	v_exp_f32_e32 v92, v95
	v_cvt_i32_f32_e32 v95, v108
	ds_load_b128 v[77:80], v47 offset:64
	ds_load_b128 v[81:84], v47 offset:80
	v_cndmask_b32_e64 v93, 0x7f800000, v93, s0
	v_cmp_ngt_f32_e64 s0, 0xc2ce8ed0, v57
	v_cmp_ngt_f32_e64 s2, 0xc2ce8ed0, v46
	v_cmp_nlt_f32_e64 s1, 0x42b17218, v53
	s_delay_alu instid0(VALU_DEP_3) | instskip(SKIP_2) | instid1(VALU_DEP_1)
	v_cndmask_b32_e64 v89, 0, v89, s0
	v_ldexp_f32 v92, v92, v95
	v_cmp_ngt_f32_e64 s0, 0xc2ce8ed0, v58
	v_cndmask_b32_e64 v90, 0, v90, s0
	v_cmp_ngt_f32_e64 s0, 0xc2ce8ed0, v59
	s_waitcnt vmcnt(0)
	v_mul_f32_e32 v95, v0, v39
	s_waitcnt lgkmcnt(5)
	s_delay_alu instid0(VALU_DEP_1) | instskip(SKIP_2) | instid1(VALU_DEP_2)
	v_mul_f32_e32 v41, v95, v61
	v_mul_f32_e32 v40, v95, v62
	;; [unrolled: 1-line block ×3, first 2 shown]
	v_dual_fmac_f32 v41, v29, v51 :: v_dual_fmac_f32 v40, v30, v85
	v_cndmask_b32_e64 v29, 0, v97, s2
	v_cmp_ngt_f32_e64 s2, 0xc2ce8ed0, v48
	s_waitcnt lgkmcnt(1)
	s_delay_alu instid0(VALU_DEP_3)
	v_fma_f32 v77, v77, v41, 0
	v_mul_f32_e32 v0, v95, v63
	ds_load_b128 v[61:64], v47 offset:96
	ds_load_b128 v[85:88], v47 offset:112
	v_cndmask_b32_e64 v30, 0, v98, s2
	v_cmp_ngt_f32_e64 s2, 0xc2ce8ed0, v49
	v_dual_fmac_f32 v77, v78, v40 :: v_dual_fmac_f32 v0, v31, v93
	v_cndmask_b32_e64 v31, 0, v91, s0
	v_cmp_ngt_f32_e64 s0, 0xc2ce8ed0, v60
	s_delay_alu instid0(VALU_DEP_4) | instskip(SKIP_2) | instid1(VALU_DEP_4)
	v_cndmask_b32_e64 v47, 0, v99, s2
	v_cmp_ngt_f32_e64 s2, 0xc2ce8ed0, v50
	v_fmac_f32_e32 v77, v79, v0
	v_cndmask_b32_e64 v91, 0, v92, s0
	v_cmp_nlt_f32_e64 s0, 0x42b17218, v46
	v_cndmask_b32_e64 v92, 0x7f800000, v94, s1
	v_cndmask_b32_e64 v51, 0, v100, s2
	v_cmp_ngt_f32_e64 s2, 0xc2ce8ed0, v52
	s_delay_alu instid0(VALU_DEP_4)
	v_cndmask_b32_e64 v46, 0x7f800000, v29, s0
	v_cmp_nlt_f32_e64 s0, 0x42b17218, v48
	v_mul_f32_e32 v29, v95, v65
	v_fmac_f32_e32 v39, v32, v92
	v_cndmask_b32_e64 v53, 0, v101, s2
	v_cmp_ngt_f32_e64 s2, 0xc2ce8ed0, v54
	v_cndmask_b32_e64 v32, 0x7f800000, v30, s0
	v_cmp_nlt_f32_e64 s0, 0x42b17218, v49
	v_mul_f32_e32 v30, v95, v66
	v_fmac_f32_e32 v29, v25, v46
	v_mul_f32_e32 v25, v95, v67
	v_cndmask_b32_e64 v96, 0, v102, s2
	v_cndmask_b32_e64 v46, 0x7f800000, v47, s0
	v_cmp_nlt_f32_e64 s0, 0x42b17218, v50
	v_fmac_f32_e32 v30, v26, v32
	v_cmp_ngt_f32_e64 s2, 0xc2ce8ed0, v55
	v_mul_f32_e32 v26, v95, v68
	v_fmac_f32_e32 v25, v27, v46
	v_cndmask_b32_e64 v32, 0x7f800000, v51, s0
	v_cmp_nlt_f32_e64 s0, 0x42b17218, v52
	v_cndmask_b32_e64 v97, 0, v103, s2
	v_cmp_ngt_f32_e64 s2, 0xc2ce8ed0, v56
	s_delay_alu instid0(VALU_DEP_4) | instskip(NEXT) | instid1(VALU_DEP_4)
	v_dual_mul_f32 v27, v95, v69 :: v_dual_fmac_f32 v26, v28, v32
	v_cndmask_b32_e64 v46, 0x7f800000, v53, s0
	v_cmp_nlt_f32_e64 s0, 0x42b17218, v54
	s_delay_alu instid0(VALU_DEP_4) | instskip(SKIP_1) | instid1(VALU_DEP_4)
	v_cndmask_b32_e64 v98, 0, v104, s2
	v_dual_mul_f32 v28, v95, v70 :: v_dual_fmac_f32 v77, v80, v39
	v_fmac_f32_e32 v27, v21, v46
	s_delay_alu instid0(VALU_DEP_4) | instskip(SKIP_1) | instid1(VALU_DEP_2)
	v_cndmask_b32_e64 v32, 0x7f800000, v96, s0
	v_cmp_nlt_f32_e64 s0, 0x42b17218, v55
	v_dual_mul_f32 v21, v95, v71 :: v_dual_fmac_f32 v28, v22, v32
	s_delay_alu instid0(VALU_DEP_2) | instskip(SKIP_2) | instid1(VALU_DEP_3)
	v_cndmask_b32_e64 v46, 0x7f800000, v97, s0
	v_cmp_nlt_f32_e64 s0, 0x42b17218, v56
	v_mul_f32_e32 v22, v95, v72
	v_fmac_f32_e32 v21, v23, v46
	s_delay_alu instid0(VALU_DEP_3) | instskip(SKIP_1) | instid1(VALU_DEP_2)
	v_cndmask_b32_e64 v32, 0x7f800000, v98, s0
	v_cmp_nlt_f32_e64 s0, 0x42b17218, v57
	v_dual_mul_f32 v23, v95, v73 :: v_dual_fmac_f32 v22, v24, v32
	s_waitcnt lgkmcnt(2)
	v_dual_mul_f32 v24, v95, v74 :: v_dual_fmac_f32 v77, v81, v29
	s_delay_alu instid0(VALU_DEP_3) | instskip(SKIP_1) | instid1(VALU_DEP_3)
	v_cndmask_b32_e64 v46, 0x7f800000, v89, s0
	v_cmp_nlt_f32_e64 s0, 0x42b17218, v58
	v_fmac_f32_e32 v77, v82, v30
	s_delay_alu instid0(VALU_DEP_3) | instskip(NEXT) | instid1(VALU_DEP_3)
	v_fmac_f32_e32 v23, v17, v46
	v_cndmask_b32_e64 v32, 0x7f800000, v90, s0
	v_cmp_nlt_f32_e64 s0, 0x42b17218, v59
	v_mul_f32_e32 v17, v95, v76
	s_delay_alu instid0(VALU_DEP_3) | instskip(NEXT) | instid1(VALU_DEP_3)
	v_dual_fmac_f32 v77, v83, v25 :: v_dual_fmac_f32 v24, v18, v32
	v_cndmask_b32_e64 v46, 0x7f800000, v31, s0
	v_mul_f32_e32 v31, v95, v75
	s_delay_alu instid0(VALU_DEP_3) | instskip(SKIP_2) | instid1(VALU_DEP_4)
	v_fmac_f32_e32 v77, v84, v26
	v_cmp_nlt_f32_e64 s0, 0x42b17218, v60
	v_add_co_u32 v32, s2, s16, v42
	v_fmac_f32_e32 v31, v19, v46
	s_waitcnt lgkmcnt(1)
	v_fmac_f32_e32 v77, v61, v27
	v_cndmask_b32_e64 v18, 0x7f800000, v91, s0
	s_add_u32 s0, s4, s12
	s_addc_u32 s1, s3, s13
	v_add_co_ci_u32_e64 v46, null, s17, 0, s2
	v_fmac_f32_e32 v77, v62, v28
	v_fmac_f32_e32 v17, v20, v18
	v_add_co_u32 v18, s2, s0, v42
	s_delay_alu instid0(VALU_DEP_1) | instskip(NEXT) | instid1(VALU_DEP_4)
	v_add_co_ci_u32_e64 v19, null, s1, 0, s2
	v_fmac_f32_e32 v77, v63, v21
	s_delay_alu instid0(VALU_DEP_1) | instskip(SKIP_1) | instid1(VALU_DEP_1)
	v_fmac_f32_e32 v77, v64, v22
	s_waitcnt lgkmcnt(0)
	v_fmac_f32_e32 v77, v85, v23
	s_delay_alu instid0(VALU_DEP_1) | instskip(NEXT) | instid1(VALU_DEP_1)
	v_fmac_f32_e32 v77, v86, v24
	v_fmac_f32_e32 v77, v87, v31
	s_delay_alu instid0(VALU_DEP_1)
	v_fmac_f32_e32 v77, v88, v17
	global_store_b32 v42, v77, s[0:1]
	s_waitcnt_vscnt null, 0x0
	s_barrier
	buffer_gl0_inv
	s_and_saveexec_b32 s0, vcc_lo
	s_cbranch_execz .LBB3_6
; %bb.5:
	s_ashr_i32 s2, s11, 2
	s_ashr_i32 s10, s37, 2
	s_ashr_i32 s3, s2, 31
	s_ashr_i32 s11, s10, 31
	s_lshl_b64 s[2:3], s[2:3], 2
	s_delay_alu instid0(SALU_CYCLE_1) | instskip(SKIP_2) | instid1(SALU_CYCLE_1)
	v_add_co_u32 v37, vcc_lo, v37, s2
	v_add_co_ci_u32_e32 v38, vcc_lo, s3, v38, vcc_lo
	s_lshl_b64 s[2:3], s[10:11], 2
	v_add_co_u32 v35, vcc_lo, v35, s2
	v_add_co_ci_u32_e32 v36, vcc_lo, s3, v36, vcc_lo
	global_load_b32 v20, v[37:38], off
	global_load_b32 v35, v[35:36], off
	s_waitcnt vmcnt(1)
	ds_store_b32 v42, v20
	s_waitcnt vmcnt(0)
	ds_store_b32 v43, v35
.LBB3_6:
	s_or_b32 exec_lo, exec_lo, s0
	s_ashr_i32 s0, s8, 2
	s_waitcnt lgkmcnt(0)
	s_ashr_i32 s1, s0, 31
	s_barrier
	s_lshl_b64 s[0:1], s[0:1], 2
	buffer_gl0_inv
	v_add_co_u32 v35, vcc_lo, v44, s0
	v_add_co_ci_u32_e32 v36, vcc_lo, s1, v45, vcc_lo
	s_mov_b32 s1, exec_lo
	global_load_b32 v20, v[35:36], off
	s_waitcnt vmcnt(0)
	v_cmpx_ge_f32_e32 0x41a00000, v20
	s_cbranch_execz .LBB3_8
; %bb.7:
	v_mul_f32_e32 v35, 0x3fb8aa3b, v20
	v_cmp_ngt_f32_e32 vcc_lo, 0xc2ce8ed0, v20
	s_mov_b32 s0, 0x3e9b6dac
	s_delay_alu instid0(VALU_DEP_2) | instskip(SKIP_1) | instid1(VALU_DEP_2)
	v_rndne_f32_e32 v36, v35
	v_fma_f32 v37, 0x3fb8aa3b, v20, -v35
	v_sub_f32_e32 v35, v35, v36
	s_delay_alu instid0(VALU_DEP_2) | instskip(SKIP_1) | instid1(VALU_DEP_2)
	v_fmamk_f32 v37, v20, 0x32a5705f, v37
	v_cvt_i32_f32_e32 v36, v36
	v_add_f32_e32 v35, v35, v37
	s_delay_alu instid0(VALU_DEP_1) | instskip(SKIP_2) | instid1(VALU_DEP_1)
	v_exp_f32_e32 v35, v35
	s_waitcnt_depctr 0xfff
	v_ldexp_f32 v35, v35, v36
	v_cndmask_b32_e32 v35, 0, v35, vcc_lo
	v_cmp_nlt_f32_e32 vcc_lo, 0x42b17218, v20
	s_delay_alu instid0(VALU_DEP_2) | instskip(NEXT) | instid1(VALU_DEP_1)
	v_cndmask_b32_e32 v20, 0x7f800000, v35, vcc_lo
	v_add_f32_e32 v37, 1.0, v20
	s_delay_alu instid0(VALU_DEP_1) | instskip(NEXT) | instid1(VALU_DEP_1)
	v_cvt_f64_f32_e32 v[35:36], v37
	v_frexp_exp_i32_f64_e32 v35, v[35:36]
	v_frexp_mant_f32_e32 v36, v37
	s_delay_alu instid0(VALU_DEP_1) | instskip(SKIP_1) | instid1(VALU_DEP_1)
	v_cmp_gt_f32_e32 vcc_lo, 0x3f2aaaab, v36
	v_add_f32_e32 v36, -1.0, v37
	v_sub_f32_e32 v42, v36, v37
	s_delay_alu instid0(VALU_DEP_1) | instskip(SKIP_1) | instid1(VALU_DEP_1)
	v_add_f32_e32 v42, 1.0, v42
	v_subrev_co_ci_u32_e32 v35, vcc_lo, 0, v35, vcc_lo
	v_sub_nc_u32_e32 v38, 0, v35
	v_cvt_f32_i32_e32 v35, v35
	s_delay_alu instid0(VALU_DEP_2) | instskip(NEXT) | instid1(VALU_DEP_1)
	v_ldexp_f32 v37, v37, v38
	v_dual_add_f32 v43, 1.0, v37 :: v_dual_sub_f32 v36, v20, v36
	v_cmp_eq_f32_e32 vcc_lo, 0x7f800000, v20
	s_delay_alu instid0(VALU_DEP_2) | instskip(NEXT) | instid1(VALU_DEP_3)
	v_add_f32_e32 v36, v36, v42
	v_add_f32_e32 v42, -1.0, v43
	s_delay_alu instid0(VALU_DEP_2) | instskip(SKIP_1) | instid1(VALU_DEP_3)
	v_ldexp_f32 v36, v36, v38
	v_add_f32_e32 v38, -1.0, v37
	v_sub_f32_e32 v42, v37, v42
	s_delay_alu instid0(VALU_DEP_2) | instskip(NEXT) | instid1(VALU_DEP_1)
	v_add_f32_e32 v44, 1.0, v38
	v_dual_add_f32 v42, v36, v42 :: v_dual_sub_f32 v37, v37, v44
	s_delay_alu instid0(VALU_DEP_1) | instskip(NEXT) | instid1(VALU_DEP_1)
	v_add_f32_e32 v44, v43, v42
	v_sub_f32_e32 v43, v43, v44
	s_delay_alu instid0(VALU_DEP_1) | instskip(NEXT) | instid1(VALU_DEP_4)
	v_add_f32_e32 v42, v42, v43
	v_add_f32_e32 v36, v36, v37
	v_rcp_f32_e32 v37, v44
	s_delay_alu instid0(VALU_DEP_1) | instskip(NEXT) | instid1(VALU_DEP_1)
	v_add_f32_e32 v45, v38, v36
	v_sub_f32_e32 v38, v38, v45
	s_waitcnt_depctr 0xfff
	v_mul_f32_e32 v47, v45, v37
	s_delay_alu instid0(VALU_DEP_1) | instskip(NEXT) | instid1(VALU_DEP_1)
	v_mul_f32_e32 v48, v44, v47
	v_fma_f32 v43, v47, v44, -v48
	s_delay_alu instid0(VALU_DEP_1) | instskip(SKIP_1) | instid1(VALU_DEP_2)
	v_fmac_f32_e32 v43, v47, v42
	v_add_f32_e32 v36, v36, v38
	v_add_f32_e32 v49, v48, v43
	s_delay_alu instid0(VALU_DEP_1) | instskip(NEXT) | instid1(VALU_DEP_1)
	v_sub_f32_e32 v50, v45, v49
	v_sub_f32_e32 v45, v45, v50
	v_sub_f32_e32 v38, v49, v48
	s_delay_alu instid0(VALU_DEP_1) | instskip(NEXT) | instid1(VALU_DEP_1)
	v_dual_sub_f32 v45, v45, v49 :: v_dual_sub_f32 v38, v38, v43
	v_add_f32_e32 v36, v36, v45
	s_delay_alu instid0(VALU_DEP_1) | instskip(NEXT) | instid1(VALU_DEP_1)
	v_add_f32_e32 v36, v38, v36
	v_add_f32_e32 v38, v50, v36
	s_delay_alu instid0(VALU_DEP_1) | instskip(NEXT) | instid1(VALU_DEP_1)
	v_mul_f32_e32 v43, v37, v38
	v_mul_f32_e32 v45, v44, v43
	v_sub_f32_e32 v49, v50, v38
	s_delay_alu instid0(VALU_DEP_2) | instskip(NEXT) | instid1(VALU_DEP_2)
	v_fma_f32 v44, v43, v44, -v45
	v_add_f32_e32 v36, v36, v49
	s_delay_alu instid0(VALU_DEP_2) | instskip(NEXT) | instid1(VALU_DEP_1)
	v_fmac_f32_e32 v44, v43, v42
	v_add_f32_e32 v42, v45, v44
	s_delay_alu instid0(VALU_DEP_1) | instskip(SKIP_1) | instid1(VALU_DEP_2)
	v_sub_f32_e32 v48, v38, v42
	v_sub_f32_e32 v45, v42, v45
	;; [unrolled: 1-line block ×3, first 2 shown]
	s_delay_alu instid0(VALU_DEP_1) | instskip(NEXT) | instid1(VALU_DEP_3)
	v_sub_f32_e32 v38, v38, v42
	v_sub_f32_e32 v42, v45, v44
	s_delay_alu instid0(VALU_DEP_2) | instskip(SKIP_1) | instid1(VALU_DEP_2)
	v_add_f32_e32 v36, v36, v38
	v_add_f32_e32 v38, v47, v43
	;; [unrolled: 1-line block ×3, first 2 shown]
	s_delay_alu instid0(VALU_DEP_2) | instskip(NEXT) | instid1(VALU_DEP_2)
	v_sub_f32_e32 v42, v38, v47
	v_add_f32_e32 v36, v48, v36
	s_delay_alu instid0(VALU_DEP_2) | instskip(NEXT) | instid1(VALU_DEP_2)
	v_sub_f32_e32 v42, v43, v42
	v_mul_f32_e32 v36, v37, v36
	s_delay_alu instid0(VALU_DEP_1) | instskip(NEXT) | instid1(VALU_DEP_1)
	v_add_f32_e32 v36, v42, v36
	v_add_f32_e32 v37, v38, v36
	s_delay_alu instid0(VALU_DEP_1) | instskip(NEXT) | instid1(VALU_DEP_1)
	v_mul_f32_e32 v42, v37, v37
	v_fmaak_f32 v43, s0, v42, 0x3ecc95a3
	v_mul_f32_e32 v44, v37, v42
	v_cmp_gt_f32_e64 s0, 0x33800000, v20
	s_delay_alu instid0(VALU_DEP_3) | instskip(SKIP_2) | instid1(VALU_DEP_4)
	v_fmaak_f32 v42, v42, v43, 0x3f2aaada
	v_ldexp_f32 v43, v37, 1
	v_sub_f32_e32 v37, v37, v38
	s_or_b32 vcc_lo, s0, vcc_lo
	s_delay_alu instid0(VALU_DEP_3) | instskip(SKIP_1) | instid1(VALU_DEP_3)
	v_mul_f32_e32 v42, v44, v42
	v_mul_f32_e32 v44, 0x3f317218, v35
	v_sub_f32_e32 v36, v36, v37
	s_delay_alu instid0(VALU_DEP_3) | instskip(NEXT) | instid1(VALU_DEP_2)
	v_add_f32_e32 v38, v43, v42
	v_ldexp_f32 v36, v36, 1
	s_delay_alu instid0(VALU_DEP_2) | instskip(SKIP_1) | instid1(VALU_DEP_2)
	v_sub_f32_e32 v37, v38, v43
	v_fma_f32 v43, 0x3f317218, v35, -v44
	v_sub_f32_e32 v37, v42, v37
	s_delay_alu instid0(VALU_DEP_1) | instskip(NEXT) | instid1(VALU_DEP_1)
	v_dual_fmamk_f32 v35, v35, 0xb102e308, v43 :: v_dual_add_f32 v36, v36, v37
	v_dual_add_f32 v37, v44, v35 :: v_dual_add_f32 v42, v38, v36
	s_delay_alu instid0(VALU_DEP_1) | instskip(NEXT) | instid1(VALU_DEP_2)
	v_sub_f32_e32 v44, v37, v44
	v_add_f32_e32 v43, v37, v42
	s_delay_alu instid0(VALU_DEP_2) | instskip(NEXT) | instid1(VALU_DEP_1)
	v_dual_sub_f32 v38, v42, v38 :: v_dual_sub_f32 v35, v35, v44
	v_dual_sub_f32 v45, v43, v37 :: v_dual_sub_f32 v36, v36, v38
	s_delay_alu instid0(VALU_DEP_1) | instskip(SKIP_1) | instid1(VALU_DEP_2)
	v_sub_f32_e32 v47, v43, v45
	v_sub_f32_e32 v38, v42, v45
	v_dual_add_f32 v42, v35, v36 :: v_dual_sub_f32 v37, v37, v47
	s_delay_alu instid0(VALU_DEP_1) | instskip(NEXT) | instid1(VALU_DEP_2)
	v_add_f32_e32 v37, v38, v37
	v_sub_f32_e32 v38, v42, v35
	s_delay_alu instid0(VALU_DEP_2) | instskip(NEXT) | instid1(VALU_DEP_2)
	v_add_f32_e32 v37, v42, v37
	v_sub_f32_e32 v42, v42, v38
	v_sub_f32_e32 v36, v36, v38
	s_delay_alu instid0(VALU_DEP_3) | instskip(NEXT) | instid1(VALU_DEP_1)
	v_add_f32_e32 v44, v43, v37
	v_dual_sub_f32 v35, v35, v42 :: v_dual_sub_f32 v38, v44, v43
	s_delay_alu instid0(VALU_DEP_1) | instskip(NEXT) | instid1(VALU_DEP_1)
	v_dual_add_f32 v35, v36, v35 :: v_dual_sub_f32 v36, v37, v38
	v_add_f32_e32 v35, v35, v36
	s_delay_alu instid0(VALU_DEP_1) | instskip(NEXT) | instid1(VALU_DEP_1)
	v_add_f32_e32 v35, v44, v35
	v_cndmask_b32_e32 v20, v35, v20, vcc_lo
.LBB3_8:
	s_or_b32 exec_lo, exec_lo, s1
	s_ashr_i32 s0, s6, 2
	s_mul_i32 s2, s14, s5
	s_ashr_i32 s1, s0, 31
	s_add_u32 s3, s30, s20
	s_addc_u32 s4, s31, s21
	s_add_u32 s3, s3, s2
	s_addc_u32 s2, s4, 0
	s_lshl_b64 s[0:1], s[0:1], 2
	v_mul_f32_e32 v15, v20, v15
	v_add_co_u32 v35, vcc_lo, v32, s0
	v_add_co_ci_u32_e32 v36, vcc_lo, s1, v46, vcc_lo
	s_delay_alu instid0(VALU_DEP_3)
	v_dual_mul_f32 v13, v20, v13 :: v_dual_mul_f32 v72, 0x3fb8aa3b, v15
	v_mul_f32_e32 v14, v20, v14
	global_load_b32 v32, v[35:36], off
	v_dual_mov_b32 v35, 0 :: v_dual_mul_f32 v16, v20, v16
	v_dual_mul_f32 v70, 0x3fb8aa3b, v13 :: v_dual_mul_f32 v71, 0x3fb8aa3b, v14
	v_mul_f32_e32 v10, v20, v10
	v_mul_f32_e32 v11, v20, v11
	s_delay_alu instid0(VALU_DEP_4) | instskip(SKIP_2) | instid1(VALU_DEP_4)
	v_mul_f32_e32 v73, 0x3fb8aa3b, v16
	v_mul_f32_e32 v12, v20, v12
	;; [unrolled: 1-line block ×3, first 2 shown]
	v_dual_mul_f32 v75, 0x3fb8aa3b, v10 :: v_dual_mul_f32 v76, 0x3fb8aa3b, v11
	s_delay_alu instid0(VALU_DEP_3) | instskip(SKIP_3) | instid1(VALU_DEP_4)
	v_dual_mul_f32 v6, v20, v6 :: v_dual_mul_f32 v77, 0x3fb8aa3b, v12
	v_mul_f32_e32 v8, v20, v8
	v_mul_f32_e32 v3, v20, v3
	v_fma_f32 v86, 0x3fb8aa3b, v13, -v70
	v_mul_f32_e32 v79, 0x3fb8aa3b, v6
	s_delay_alu instid0(VALU_DEP_4) | instskip(SKIP_3) | instid1(VALU_DEP_4)
	v_dual_mul_f32 v2, v20, v2 :: v_dual_mul_f32 v81, 0x3fb8aa3b, v8
	v_mul_f32_e32 v4, v20, v4
	v_rndne_f32_e32 v87, v70
	v_fma_f32 v88, 0x3fb8aa3b, v14, -v71
	v_mul_f32_e32 v83, 0x3fb8aa3b, v2
	v_rndne_f32_e32 v89, v71
	v_mul_f32_e32 v7, v20, v7
	v_mul_f32_e32 v5, v20, v5
	v_dual_mul_f32 v1, v20, v1 :: v_dual_mul_f32 v84, 0x3fb8aa3b, v3
	v_dual_mul_f32 v74, 0x3fb8aa3b, v9 :: v_dual_mul_f32 v85, 0x3fb8aa3b, v4
	v_sub_f32_e32 v70, v70, v87
	v_rndne_f32_e32 v91, v72
	v_fma_f32 v92, 0x3fb8aa3b, v16, -v73
	v_rndne_f32_e32 v104, v73
	v_dual_fmac_f32 v88, 0x32a5705f, v14 :: v_dual_sub_f32 v71, v71, v89
	v_fmac_f32_e32 v86, 0x32a5705f, v13
	v_mul_f32_e32 v80, 0x3fb8aa3b, v7
	v_mul_f32_e32 v78, 0x3fb8aa3b, v5
	s_delay_alu instid0(VALU_DEP_4)
	v_dual_mul_f32 v82, 0x3fb8aa3b, v1 :: v_dual_add_f32 v71, v71, v88
	v_fma_f32 v90, 0x3fb8aa3b, v15, -v72
	v_fma_f32 v93, 0x3fb8aa3b, v9, -v74
	;; [unrolled: 1-line block ×3, first 2 shown]
	v_add_f32_e32 v70, v70, v86
	v_rndne_f32_e32 v86, v84
	v_fmac_f32_e32 v92, 0x32a5705f, v16
	v_dual_sub_f32 v72, v72, v91 :: v_dual_sub_f32 v73, v73, v104
	v_fma_f32 v94, 0x3fb8aa3b, v10, -v75
	v_fma_f32 v96, 0x3fb8aa3b, v12, -v77
	;; [unrolled: 1-line block ×6, first 2 shown]
	v_rndne_f32_e32 v106, v74
	v_rndne_f32_e32 v107, v75
	;; [unrolled: 1-line block ×3, first 2 shown]
	v_dual_fmac_f32 v90, 0x32a5705f, v15 :: v_dual_fmac_f32 v97, 0x32a5705f, v5
	v_fmac_f32_e32 v93, 0x32a5705f, v9
	v_dual_fmac_f32 v95, 0x32a5705f, v11 :: v_dual_sub_f32 v84, v84, v86
	v_add_f32_e32 v73, v73, v92
	v_exp_f32_e32 v70, v70
	v_fma_f32 v99, 0x3fb8aa3b, v7, -v80
	v_fmac_f32_e32 v94, 0x32a5705f, v10
	v_dual_fmac_f32 v96, 0x32a5705f, v12 :: v_dual_fmac_f32 v101, 0x32a5705f, v1
	v_dual_fmac_f32 v100, 0x32a5705f, v8 :: v_dual_sub_f32 v75, v75, v107
	v_dual_sub_f32 v74, v74, v106 :: v_dual_sub_f32 v77, v77, v109
	v_cvt_i32_f32_e32 v87, v87
	v_add_f32_e32 v72, v72, v90
	v_exp_f32_e32 v71, v71
	v_exp_f32_e32 v73, v73
	v_add_f32_e32 v77, v77, v96
	v_rndne_f32_e32 v114, v82
	v_fmac_f32_e32 v99, 0x32a5705f, v7
	v_cvt_i32_f32_e32 v89, v89
	v_cvt_i32_f32_e32 v104, v104
	v_dual_add_f32 v74, v74, v93 :: v_dual_add_f32 v75, v75, v94
	v_exp_f32_e32 v72, v72
	v_ldexp_f32 v70, v70, v87
	v_cmp_ngt_f32_e32 vcc_lo, 0xc2ce8ed0, v13
	v_rndne_f32_e32 v108, v76
	v_rndne_f32_e32 v88, v85
	v_sub_f32_e32 v82, v82, v114
	v_cvt_i32_f32_e32 v91, v91
	v_exp_f32_e32 v75, v75
	v_ldexp_f32 v71, v71, v89
	v_ldexp_f32 v73, v73, v104
	v_cndmask_b32_e32 v70, 0, v70, vcc_lo
	v_cmp_ngt_f32_e32 vcc_lo, 0xc2ce8ed0, v14
	v_fma_f32 v98, 0x3fb8aa3b, v6, -v79
	v_fma_f32 v105, 0x3fb8aa3b, v4, -v85
	v_rndne_f32_e32 v111, v79
	v_sub_f32_e32 v76, v76, v108
	v_sub_f32_e32 v85, v85, v88
	v_cvt_i32_f32_e32 v107, v107
	v_dual_add_f32 v82, v82, v101 :: v_dual_cndmask_b32 v71, 0, v71
	v_exp_f32_e32 v74, v74
	v_ldexp_f32 v72, v72, v91
	v_cmp_ngt_f32_e32 vcc_lo, 0xc2ce8ed0, v15
	v_rndne_f32_e32 v110, v78
	v_dual_fmac_f32 v98, 0x32a5705f, v6 :: v_dual_fmac_f32 v103, 0x32a5705f, v3
	v_sub_f32_e32 v79, v79, v111
	v_cvt_i32_f32_e32 v106, v106
	v_add_f32_e32 v76, v76, v95
	v_exp_f32_e32 v77, v77
	v_ldexp_f32 v75, v75, v107
	v_dual_add_f32 v79, v79, v98 :: v_dual_cndmask_b32 v72, 0, v72
	v_cmp_ngt_f32_e32 vcc_lo, 0xc2ce8ed0, v16
	v_rndne_f32_e32 v113, v81
	v_sub_f32_e32 v78, v78, v110
	v_cvt_i32_f32_e32 v109, v109
	v_exp_f32_e32 v76, v76
	v_ldexp_f32 v74, v74, v106
	v_sub_f32_e32 v81, v81, v113
	v_cndmask_b32_e32 v73, 0, v73, vcc_lo
	v_cmp_ngt_f32_e32 vcc_lo, 0xc2ce8ed0, v9
	v_rndne_f32_e32 v112, v80
	v_cvt_i32_f32_e32 v108, v108
	v_dual_add_f32 v78, v78, v97 :: v_dual_add_f32 v81, v81, v100
	v_exp_f32_e32 v79, v79
	v_ldexp_f32 v77, v77, v109
	v_cndmask_b32_e32 v74, 0, v74, vcc_lo
	v_cmp_ngt_f32_e32 vcc_lo, 0xc2ce8ed0, v10
	v_fma_f32 v102, 0x3fb8aa3b, v2, -v83
	v_rndne_f32_e32 v115, v83
	v_sub_f32_e32 v80, v80, v112
	v_cvt_i32_f32_e32 v111, v111
	v_exp_f32_e32 v78, v78
	v_ldexp_f32 v76, v76, v108
	v_sub_f32_e32 v83, v83, v115
	v_cndmask_b32_e32 v75, 0, v75, vcc_lo
	v_cmp_ngt_f32_e32 vcc_lo, 0xc2ce8ed0, v11
	v_dual_fmac_f32 v102, 0x32a5705f, v2 :: v_dual_fmac_f32 v105, 0x32a5705f, v4
	v_cvt_i32_f32_e32 v110, v110
	v_add_f32_e32 v80, v80, v99
	v_exp_f32_e32 v81, v81
	s_delay_alu instid0(VALU_DEP_3)
	v_add_f32_e32 v83, v83, v102
	v_ldexp_f32 v79, v79, v111
	v_cndmask_b32_e32 v76, 0, v76, vcc_lo
	v_cmp_ngt_f32_e32 vcc_lo, 0xc2ce8ed0, v12
	v_cvt_i32_f32_e32 v113, v113
	v_exp_f32_e32 v80, v80
	v_ldexp_f32 v78, v78, v110
	v_cvt_i32_f32_e32 v112, v112
	v_cndmask_b32_e32 v77, 0, v77, vcc_lo
	v_cmp_ngt_f32_e32 vcc_lo, 0xc2ce8ed0, v5
	v_exp_f32_e32 v83, v83
	v_ldexp_f32 v81, v81, v113
	v_cvt_i32_f32_e32 v115, v115
	v_exp_f32_e32 v82, v82
	v_cndmask_b32_e32 v78, 0, v78, vcc_lo
	v_cmp_ngt_f32_e32 vcc_lo, 0xc2ce8ed0, v6
	v_ldexp_f32 v80, v80, v112
	v_cvt_i32_f32_e32 v114, v114
	v_dual_add_f32 v84, v84, v103 :: v_dual_add_f32 v85, v85, v105
	v_cndmask_b32_e32 v79, 0, v79, vcc_lo
	v_cmp_ngt_f32_e32 vcc_lo, 0xc2ce8ed0, v7
	v_ldexp_f32 v83, v83, v115
	s_delay_alu instid0(VALU_DEP_4)
	v_exp_f32_e32 v84, v84
	v_ldexp_f32 v82, v82, v114
	ds_load_b128 v[42:45], v35
	ds_load_b128 v[46:49], v35 offset:16
	ds_load_b128 v[50:53], v35 offset:32
	ds_load_b128 v[54:57], v35 offset:48
	v_cndmask_b32_e32 v80, 0, v80, vcc_lo
	v_cmp_ngt_f32_e32 vcc_lo, 0xc2ce8ed0, v8
	v_cvt_i32_f32_e32 v86, v86
	v_exp_f32_e32 v85, v85
	v_cvt_i32_f32_e32 v88, v88
	ds_load_b128 v[58:61], v35 offset:64
	ds_load_b128 v[62:65], v35 offset:80
	v_cndmask_b32_e32 v81, 0, v81, vcc_lo
	v_cmp_ngt_f32_e32 vcc_lo, 0xc2ce8ed0, v1
	v_ldexp_f32 v84, v84, v86
	ds_load_b128 v[66:69], v35 offset:96
	ds_load_b128 v[35:38], v35 offset:112
	s_mov_b32 s0, 0
	s_mov_b32 s1, s22
	v_ldexp_f32 v85, v85, v88
	s_ashr_i64 s[0:1], s[0:1], 30
	s_add_u32 s3, s3, s29
	s_addc_u32 s2, s2, s28
	s_waitcnt vmcnt(0)
	v_mul_f32_e32 v20, v20, v32
	v_cndmask_b32_e32 v82, 0, v82, vcc_lo
	v_cmp_ngt_f32_e32 vcc_lo, 0xc2ce8ed0, v2
	v_cndmask_b32_e32 v83, 0, v83, vcc_lo
	v_cmp_ngt_f32_e32 vcc_lo, 0xc2ce8ed0, v3
	v_cndmask_b32_e32 v32, 0, v84, vcc_lo
	v_cmp_nlt_f32_e32 vcc_lo, 0x42b17218, v13
	s_waitcnt lgkmcnt(7)
	v_mul_f32_e32 v13, v20, v42
	v_cndmask_b32_e32 v70, 0x7f800000, v70, vcc_lo
	v_cmp_ngt_f32_e32 vcc_lo, 0xc2ce8ed0, v4
	s_delay_alu instid0(VALU_DEP_2)
	v_dual_fmac_f32 v13, v41, v70 :: v_dual_cndmask_b32 v42, 0, v85
	v_cmp_nlt_f32_e32 vcc_lo, 0x42b17218, v14
	v_cndmask_b32_e32 v71, 0x7f800000, v71, vcc_lo
	v_cmp_nlt_f32_e32 vcc_lo, 0x42b17218, v15
	v_mul_f32_e32 v14, v20, v43
	v_mul_f32_e32 v15, v20, v44
	v_cndmask_b32_e32 v41, 0x7f800000, v72, vcc_lo
	v_cmp_nlt_f32_e32 vcc_lo, 0x42b17218, v16
	s_delay_alu instid0(VALU_DEP_4)
	v_fmac_f32_e32 v14, v40, v71
	s_waitcnt lgkmcnt(3)
	v_fma_f32 v40, v58, v13, 0
	v_fmac_f32_e32 v15, v0, v41
	v_cndmask_b32_e32 v43, 0x7f800000, v73, vcc_lo
	v_cmp_nlt_f32_e32 vcc_lo, 0x42b17218, v9
	v_cndmask_b32_e32 v0, 0x7f800000, v74, vcc_lo
	v_cmp_nlt_f32_e32 vcc_lo, 0x42b17218, v10
	v_mul_f32_e32 v16, v20, v45
	s_delay_alu instid0(VALU_DEP_1) | instskip(SKIP_3) | instid1(VALU_DEP_4)
	v_dual_mul_f32 v9, v20, v46 :: v_dual_fmac_f32 v16, v39, v43
	v_cndmask_b32_e32 v39, 0x7f800000, v75, vcc_lo
	v_cmp_nlt_f32_e32 vcc_lo, 0x42b17218, v11
	v_dual_mul_f32 v11, v20, v48 :: v_dual_fmac_f32 v40, v59, v14
	v_fmac_f32_e32 v9, v29, v0
	v_cndmask_b32_e32 v0, 0x7f800000, v76, vcc_lo
	v_cmp_nlt_f32_e32 vcc_lo, 0x42b17218, v12
	s_delay_alu instid0(VALU_DEP_4) | instskip(NEXT) | instid1(VALU_DEP_3)
	v_fmac_f32_e32 v40, v60, v15
	v_dual_mul_f32 v10, v20, v47 :: v_dual_fmac_f32 v11, v25, v0
	v_cndmask_b32_e32 v29, 0x7f800000, v77, vcc_lo
	v_cmp_nlt_f32_e32 vcc_lo, 0x42b17218, v5
	s_delay_alu instid0(VALU_DEP_4)
	v_dual_fmac_f32 v40, v61, v16 :: v_dual_mul_f32 v5, v20, v50
	v_cndmask_b32_e32 v0, 0x7f800000, v78, vcc_lo
	v_cmp_nlt_f32_e32 vcc_lo, 0x42b17218, v6
	v_fmac_f32_e32 v10, v30, v39
	s_waitcnt lgkmcnt(2)
	v_fmac_f32_e32 v40, v62, v9
	v_dual_mul_f32 v6, v20, v51 :: v_dual_fmac_f32 v5, v27, v0
	v_cndmask_b32_e32 v25, 0x7f800000, v79, vcc_lo
	v_cmp_nlt_f32_e32 vcc_lo, 0x42b17218, v7
	s_delay_alu instid0(VALU_DEP_4) | instskip(NEXT) | instid1(VALU_DEP_3)
	v_dual_fmac_f32 v40, v63, v10 :: v_dual_mul_f32 v7, v20, v52
	v_fmac_f32_e32 v6, v28, v25
	v_cndmask_b32_e32 v0, 0x7f800000, v80, vcc_lo
	v_cmp_nlt_f32_e32 vcc_lo, 0x42b17218, v8
	v_mul_f32_e32 v12, v20, v49
	v_fmac_f32_e32 v40, v64, v11
	s_delay_alu instid0(VALU_DEP_4) | instskip(SKIP_4) | instid1(VALU_DEP_4)
	v_dual_mul_f32 v8, v20, v53 :: v_dual_fmac_f32 v7, v21, v0
	v_cndmask_b32_e32 v25, 0x7f800000, v81, vcc_lo
	v_cmp_nlt_f32_e32 vcc_lo, 0x42b17218, v1
	v_fmac_f32_e32 v12, v26, v29
	v_mul_f32_e32 v0, v20, v54
	v_dual_mul_f32 v1, v20, v55 :: v_dual_fmac_f32 v8, v22, v25
	v_cndmask_b32_e32 v21, 0x7f800000, v82, vcc_lo
	v_cmp_nlt_f32_e32 vcc_lo, 0x42b17218, v2
	v_mul_f32_e32 v2, v20, v56
	s_delay_alu instid0(VALU_DEP_3) | instskip(SKIP_3) | instid1(VALU_DEP_3)
	v_fmac_f32_e32 v0, v23, v21
	v_cndmask_b32_e32 v22, 0x7f800000, v83, vcc_lo
	v_cmp_nlt_f32_e32 vcc_lo, 0x42b17218, v3
	v_dual_fmac_f32 v40, v65, v12 :: v_dual_mul_f32 v3, v20, v57
	v_fmac_f32_e32 v1, v24, v22
	v_cndmask_b32_e32 v21, 0x7f800000, v32, vcc_lo
	v_cmp_nlt_f32_e32 vcc_lo, 0x42b17218, v4
	s_waitcnt lgkmcnt(1)
	v_fmac_f32_e32 v40, v66, v5
	s_delay_alu instid0(VALU_DEP_3) | instskip(SKIP_1) | instid1(VALU_DEP_1)
	v_fmac_f32_e32 v2, v31, v21
	v_cndmask_b32_e32 v4, 0x7f800000, v42, vcc_lo
	v_dual_fmac_f32 v3, v17, v4 :: v_dual_fmac_f32 v40, v67, v6
	v_add_co_u32 v17, vcc_lo, v18, s0
	v_add_co_ci_u32_e32 v18, vcc_lo, s1, v19, vcc_lo
	s_delay_alu instid0(VALU_DEP_3) | instskip(SKIP_2) | instid1(VALU_DEP_3)
	v_fmac_f32_e32 v40, v68, v7
	v_add_co_u32 v19, vcc_lo, s3, v33
	v_add_co_ci_u32_e32 v20, vcc_lo, s2, v34, vcc_lo
	v_fmac_f32_e32 v40, v69, v8
	s_waitcnt lgkmcnt(0)
	s_delay_alu instid0(VALU_DEP_1) | instskip(NEXT) | instid1(VALU_DEP_1)
	v_fmac_f32_e32 v40, v35, v0
	v_fmac_f32_e32 v40, v36, v1
	s_delay_alu instid0(VALU_DEP_1) | instskip(NEXT) | instid1(VALU_DEP_1)
	v_fmac_f32_e32 v40, v37, v2
	v_fmac_f32_e32 v40, v38, v3
	global_store_b32 v[17:18], v40, off
	s_waitcnt_vscnt null, 0x0
	s_barrier
	buffer_gl0_inv
	s_clause 0x3
	global_store_b128 v[19:20], v[13:16], off
	global_store_b128 v[19:20], v[9:12], off offset:16
	global_store_b128 v[19:20], v[5:8], off offset:32
	;; [unrolled: 1-line block ×3, first 2 shown]
	s_nop 0
	s_sendmsg sendmsg(MSG_DEALLOC_VGPRS)
	s_endpgm
	.section	.rodata,"a",@progbits
	.p2align	6, 0x0
	.amdhsa_kernel _Z12ssm_scan_f32ILm128ELm16ELm2EEvPKfS1_S1_S1_S1_S1_PKiPfiiiiiiiiiiilll
		.amdhsa_group_segment_fixed_size 128
		.amdhsa_private_segment_fixed_size 0
		.amdhsa_kernarg_size 136
		.amdhsa_user_sgpr_count 14
		.amdhsa_user_sgpr_dispatch_ptr 0
		.amdhsa_user_sgpr_queue_ptr 0
		.amdhsa_user_sgpr_kernarg_segment_ptr 1
		.amdhsa_user_sgpr_dispatch_id 0
		.amdhsa_user_sgpr_private_segment_size 0
		.amdhsa_wavefront_size32 1
		.amdhsa_uses_dynamic_stack 0
		.amdhsa_enable_private_segment 0
		.amdhsa_system_sgpr_workgroup_id_x 1
		.amdhsa_system_sgpr_workgroup_id_y 1
		.amdhsa_system_sgpr_workgroup_id_z 0
		.amdhsa_system_sgpr_workgroup_info 0
		.amdhsa_system_vgpr_workitem_id 0
		.amdhsa_next_free_vgpr 116
		.amdhsa_next_free_sgpr 40
		.amdhsa_reserve_vcc 1
		.amdhsa_float_round_mode_32 0
		.amdhsa_float_round_mode_16_64 0
		.amdhsa_float_denorm_mode_32 3
		.amdhsa_float_denorm_mode_16_64 3
		.amdhsa_dx10_clamp 1
		.amdhsa_ieee_mode 1
		.amdhsa_fp16_overflow 0
		.amdhsa_workgroup_processor_mode 1
		.amdhsa_memory_ordered 1
		.amdhsa_forward_progress 0
		.amdhsa_shared_vgpr_count 0
		.amdhsa_exception_fp_ieee_invalid_op 0
		.amdhsa_exception_fp_denorm_src 0
		.amdhsa_exception_fp_ieee_div_zero 0
		.amdhsa_exception_fp_ieee_overflow 0
		.amdhsa_exception_fp_ieee_underflow 0
		.amdhsa_exception_fp_ieee_inexact 0
		.amdhsa_exception_int_div_zero 0
	.end_amdhsa_kernel
	.section	.text._Z12ssm_scan_f32ILm128ELm16ELm2EEvPKfS1_S1_S1_S1_S1_PKiPfiiiiiiiiiiilll,"axG",@progbits,_Z12ssm_scan_f32ILm128ELm16ELm2EEvPKfS1_S1_S1_S1_S1_PKiPfiiiiiiiiiiilll,comdat
.Lfunc_end3:
	.size	_Z12ssm_scan_f32ILm128ELm16ELm2EEvPKfS1_S1_S1_S1_S1_PKiPfiiiiiiiiiiilll, .Lfunc_end3-_Z12ssm_scan_f32ILm128ELm16ELm2EEvPKfS1_S1_S1_S1_S1_PKiPfiiiiiiiiiiilll
                                        ; -- End function
	.section	.AMDGPU.csdata,"",@progbits
; Kernel info:
; codeLenInByte = 6368
; NumSgprs: 42
; NumVgprs: 116
; ScratchSize: 0
; MemoryBound: 0
; FloatMode: 240
; IeeeMode: 1
; LDSByteSize: 128 bytes/workgroup (compile time only)
; SGPRBlocks: 5
; VGPRBlocks: 14
; NumSGPRsForWavesPerEU: 42
; NumVGPRsForWavesPerEU: 116
; Occupancy: 12
; WaveLimiterHint : 1
; COMPUTE_PGM_RSRC2:SCRATCH_EN: 0
; COMPUTE_PGM_RSRC2:USER_SGPR: 14
; COMPUTE_PGM_RSRC2:TRAP_HANDLER: 0
; COMPUTE_PGM_RSRC2:TGID_X_EN: 1
; COMPUTE_PGM_RSRC2:TGID_Y_EN: 1
; COMPUTE_PGM_RSRC2:TGID_Z_EN: 0
; COMPUTE_PGM_RSRC2:TIDIG_COMP_CNT: 0
	.section	.text._Z12ssm_scan_f32ILm128ELm16ELm3EEvPKfS1_S1_S1_S1_S1_PKiPfiiiiiiiiiiilll,"axG",@progbits,_Z12ssm_scan_f32ILm128ELm16ELm3EEvPKfS1_S1_S1_S1_S1_PKiPfiiiiiiiiiiilll,comdat
	.protected	_Z12ssm_scan_f32ILm128ELm16ELm3EEvPKfS1_S1_S1_S1_S1_PKiPfiiiiiiiiiiilll ; -- Begin function _Z12ssm_scan_f32ILm128ELm16ELm3EEvPKfS1_S1_S1_S1_S1_PKiPfiiiiiiiiiiilll
	.globl	_Z12ssm_scan_f32ILm128ELm16ELm3EEvPKfS1_S1_S1_S1_S1_PKiPfiiiiiiiiiiilll
	.p2align	8
	.type	_Z12ssm_scan_f32ILm128ELm16ELm3EEvPKfS1_S1_S1_S1_S1_PKiPfiiiiiiiiiiilll,@function
_Z12ssm_scan_f32ILm128ELm16ELm3EEvPKfS1_S1_S1_S1_S1_PKiPfiiiiiiiiiiilll: ; @_Z12ssm_scan_f32ILm128ELm16ELm3EEvPKfS1_S1_S1_S1_S1_PKiPfiiiiiiiiiiilll
; %bb.0:
	s_load_b512 s[16:31], s[0:1], 0x0
	s_mov_b32 s2, s15
	s_mov_b32 s15, 0
	v_dual_mov_b32 v2, 0 :: v_dual_lshlrev_b32 v39, 2, v0
	s_lshl_b64 s[4:5], s[14:15], 2
	s_load_b128 s[36:39], s[0:1], 0x60
	s_waitcnt lgkmcnt(0)
	s_add_u32 s12, s28, s4
	s_addc_u32 s13, s29, s5
	s_load_b256 s[4:11], s[0:1], 0x40
	s_load_b32 s3, s[12:13], 0x0
	s_waitcnt lgkmcnt(0)
	s_mul_i32 s3, s3, s5
	s_delay_alu instid0(SALU_CYCLE_1)
	s_ashr_i32 s12, s3, 31
	s_add_u32 s3, s16, s3
	s_addc_u32 s12, s17, s12
	s_lshl_b32 s13, s2, 7
	s_ashr_i32 s16, s4, 31
	s_lshr_b32 s17, s2, 25
	s_mul_i32 s16, s13, s16
	s_mul_hi_u32 s28, s13, s4
	s_mul_i32 s33, s17, s4
	s_add_i32 s16, s28, s16
	s_mul_i32 s29, s13, s4
	s_add_i32 s28, s16, s33
	s_add_u32 s3, s3, s29
	s_addc_u32 s12, s12, s28
	s_ashr_i32 s16, s10, 31
	s_mul_hi_u32 s33, s13, s10
	s_mul_i32 s16, s13, s16
	s_mul_i32 s17, s17, s10
	s_add_i32 s16, s33, s16
	s_mul_i32 s13, s13, s10
	s_add_i32 s16, s16, s17
	s_add_u32 s13, s22, s13
	s_addc_u32 s16, s23, s16
	s_ashr_i32 s10, s10, 2
	s_ashr_i32 s4, s4, 2
	v_mul_lo_u32 v1, s10, v0
	s_delay_alu instid0(VALU_DEP_1) | instskip(SKIP_2) | instid1(VALU_DEP_2)
	v_lshlrev_b64 v[3:4], 2, v[1:2]
	v_mul_lo_u32 v1, s4, v0
	s_mul_i32 s4, s14, s38
	v_add_co_u32 v13, vcc_lo, s13, v3
	s_delay_alu instid0(VALU_DEP_3) | instskip(NEXT) | instid1(VALU_DEP_3)
	v_add_co_ci_u32_e32 v14, vcc_lo, s16, v4, vcc_lo
	v_lshlrev_b64 v[33:34], 2, v[1:2]
	s_delay_alu instid0(VALU_DEP_1) | instskip(NEXT) | instid1(VALU_DEP_2)
	v_add_co_u32 v29, vcc_lo, s3, v33
	v_add_co_ci_u32_e32 v30, vcc_lo, s12, v34, vcc_lo
	s_clause 0x3
	global_load_b128 v[1:4], v[13:14], off offset:48
	global_load_b128 v[5:8], v[13:14], off offset:32
	;; [unrolled: 1-line block ×3, first 2 shown]
	global_load_b128 v[13:16], v[13:14], off
	s_clause 0x3
	global_load_b128 v[17:20], v[29:30], off offset:48
	global_load_b128 v[21:24], v[29:30], off offset:32
	;; [unrolled: 1-line block ×3, first 2 shown]
	global_load_b128 v[29:32], v[29:30], off
	s_mul_i32 s3, s14, s36
	v_cmp_gt_u32_e32 vcc_lo, 16, v0
	s_add_u32 s3, s24, s3
	s_addc_u32 s10, s25, 0
	s_add_u32 s4, s26, s4
	v_add_co_u32 v37, s3, s3, v39
	s_addc_u32 s12, s27, 0
	v_add_co_ci_u32_e64 v38, null, s10, 0, s3
	v_add_co_u32 v35, s3, s4, v39
	s_delay_alu instid0(VALU_DEP_1)
	v_add_co_ci_u32_e64 v36, null, s12, 0, s3
	v_add_nc_u32_e32 v0, 64, v39
	s_mov_b32 s3, s15
	s_and_saveexec_b32 s4, vcc_lo
	s_cbranch_execz .LBB4_2
; %bb.1:
	global_load_b32 v40, v[37:38], off
	global_load_b32 v41, v[35:36], off
	s_waitcnt vmcnt(1)
	ds_store_b32 v39, v40
	s_waitcnt vmcnt(0)
	ds_store_b32 v0, v41
.LBB4_2:
	s_or_b32 exec_lo, exec_lo, s4
	s_mul_i32 s4, s14, s9
	s_lshl_b64 s[12:13], s[2:3], 9
	s_add_u32 s2, s20, s4
	s_addc_u32 s3, s21, 0
	s_add_u32 s2, s2, s12
	s_addc_u32 s3, s3, s13
	s_waitcnt vmcnt(0) lgkmcnt(0)
	s_barrier
	buffer_gl0_inv
	global_load_b32 v40, v39, s[2:3]
	v_add_co_u32 v46, s2, s2, v39
	s_delay_alu instid0(VALU_DEP_1)
	v_add_co_ci_u32_e64 v47, null, s3, 0, s2
	s_mov_b32 s4, exec_lo
	s_waitcnt vmcnt(0)
	v_cmpx_ge_f32_e32 0x41a00000, v40
	s_cbranch_execz .LBB4_4
; %bb.3:
	v_mul_f32_e32 v41, 0x3fb8aa3b, v40
	v_cmp_ngt_f32_e64 s2, 0xc2ce8ed0, v40
	s_delay_alu instid0(VALU_DEP_2) | instskip(SKIP_1) | instid1(VALU_DEP_2)
	v_rndne_f32_e32 v42, v41
	v_fma_f32 v43, 0x3fb8aa3b, v40, -v41
	v_sub_f32_e32 v41, v41, v42
	s_delay_alu instid0(VALU_DEP_2) | instskip(SKIP_1) | instid1(VALU_DEP_2)
	v_fmamk_f32 v43, v40, 0x32a5705f, v43
	v_cvt_i32_f32_e32 v42, v42
	v_add_f32_e32 v41, v41, v43
	s_delay_alu instid0(VALU_DEP_1) | instskip(SKIP_2) | instid1(VALU_DEP_1)
	v_exp_f32_e32 v41, v41
	s_waitcnt_depctr 0xfff
	v_ldexp_f32 v41, v41, v42
	v_cndmask_b32_e64 v41, 0, v41, s2
	v_cmp_nlt_f32_e64 s2, 0x42b17218, v40
	s_delay_alu instid0(VALU_DEP_1) | instskip(NEXT) | instid1(VALU_DEP_1)
	v_cndmask_b32_e64 v42, 0x7f800000, v41, s2
	v_add_f32_e32 v43, 1.0, v42
	v_cmp_gt_f32_e64 s3, 0x33800000, v42
	s_delay_alu instid0(VALU_DEP_2) | instskip(NEXT) | instid1(VALU_DEP_1)
	v_cvt_f64_f32_e32 v[40:41], v43
	v_frexp_exp_i32_f64_e32 v40, v[40:41]
	v_frexp_mant_f32_e32 v41, v43
	s_delay_alu instid0(VALU_DEP_1) | instskip(SKIP_1) | instid1(VALU_DEP_1)
	v_cmp_gt_f32_e64 s2, 0x3f2aaaab, v41
	v_add_f32_e32 v41, -1.0, v43
	v_sub_f32_e32 v45, v41, v43
	v_sub_f32_e32 v41, v42, v41
	s_delay_alu instid0(VALU_DEP_2) | instskip(NEXT) | instid1(VALU_DEP_1)
	v_add_f32_e32 v45, 1.0, v45
	v_add_f32_e32 v41, v41, v45
	v_subrev_co_ci_u32_e64 v40, s2, 0, v40, s2
	s_mov_b32 s2, 0x3e9b6dac
	s_delay_alu instid0(VALU_DEP_1) | instskip(SKIP_1) | instid1(VALU_DEP_2)
	v_sub_nc_u32_e32 v44, 0, v40
	v_cvt_f32_i32_e32 v40, v40
	v_ldexp_f32 v43, v43, v44
	v_ldexp_f32 v41, v41, v44
	s_delay_alu instid0(VALU_DEP_2) | instskip(NEXT) | instid1(VALU_DEP_1)
	v_add_f32_e32 v48, 1.0, v43
	v_dual_add_f32 v44, -1.0, v43 :: v_dual_add_f32 v45, -1.0, v48
	s_delay_alu instid0(VALU_DEP_1) | instskip(NEXT) | instid1(VALU_DEP_2)
	v_add_f32_e32 v49, 1.0, v44
	v_sub_f32_e32 v45, v43, v45
	s_delay_alu instid0(VALU_DEP_2) | instskip(NEXT) | instid1(VALU_DEP_2)
	v_sub_f32_e32 v43, v43, v49
	v_add_f32_e32 v45, v41, v45
	s_delay_alu instid0(VALU_DEP_2) | instskip(NEXT) | instid1(VALU_DEP_2)
	v_add_f32_e32 v41, v41, v43
	v_add_f32_e32 v49, v48, v45
	s_delay_alu instid0(VALU_DEP_2) | instskip(NEXT) | instid1(VALU_DEP_2)
	v_add_f32_e32 v50, v44, v41
	v_rcp_f32_e32 v43, v49
	v_sub_f32_e32 v48, v48, v49
	s_delay_alu instid0(VALU_DEP_1) | instskip(NEXT) | instid1(VALU_DEP_1)
	v_dual_sub_f32 v44, v44, v50 :: v_dual_add_f32 v45, v45, v48
	v_add_f32_e32 v41, v41, v44
	s_waitcnt_depctr 0xfff
	v_mul_f32_e32 v51, v50, v43
	s_delay_alu instid0(VALU_DEP_1) | instskip(NEXT) | instid1(VALU_DEP_1)
	v_mul_f32_e32 v52, v49, v51
	v_fma_f32 v48, v51, v49, -v52
	s_delay_alu instid0(VALU_DEP_1) | instskip(NEXT) | instid1(VALU_DEP_1)
	v_fmac_f32_e32 v48, v51, v45
	v_add_f32_e32 v53, v52, v48
	s_delay_alu instid0(VALU_DEP_1) | instskip(SKIP_1) | instid1(VALU_DEP_2)
	v_sub_f32_e32 v54, v50, v53
	v_sub_f32_e32 v44, v53, v52
	;; [unrolled: 1-line block ×3, first 2 shown]
	s_delay_alu instid0(VALU_DEP_2) | instskip(NEXT) | instid1(VALU_DEP_2)
	v_sub_f32_e32 v44, v44, v48
	v_sub_f32_e32 v50, v50, v53
	s_delay_alu instid0(VALU_DEP_1) | instskip(NEXT) | instid1(VALU_DEP_1)
	v_add_f32_e32 v41, v41, v50
	v_add_f32_e32 v41, v44, v41
	s_delay_alu instid0(VALU_DEP_1) | instskip(NEXT) | instid1(VALU_DEP_1)
	v_add_f32_e32 v44, v54, v41
	v_mul_f32_e32 v48, v43, v44
	v_sub_f32_e32 v53, v54, v44
	s_delay_alu instid0(VALU_DEP_2) | instskip(NEXT) | instid1(VALU_DEP_2)
	v_mul_f32_e32 v50, v49, v48
	v_add_f32_e32 v41, v41, v53
	s_delay_alu instid0(VALU_DEP_2) | instskip(NEXT) | instid1(VALU_DEP_1)
	v_fma_f32 v49, v48, v49, -v50
	v_fmac_f32_e32 v49, v48, v45
	s_delay_alu instid0(VALU_DEP_1) | instskip(NEXT) | instid1(VALU_DEP_1)
	v_add_f32_e32 v45, v50, v49
	v_sub_f32_e32 v52, v44, v45
	v_sub_f32_e32 v50, v45, v50
	s_delay_alu instid0(VALU_DEP_2) | instskip(NEXT) | instid1(VALU_DEP_1)
	v_sub_f32_e32 v44, v44, v52
	v_sub_f32_e32 v44, v44, v45
	s_delay_alu instid0(VALU_DEP_3) | instskip(NEXT) | instid1(VALU_DEP_2)
	v_sub_f32_e32 v45, v50, v49
	v_add_f32_e32 v41, v41, v44
	s_delay_alu instid0(VALU_DEP_1) | instskip(NEXT) | instid1(VALU_DEP_1)
	v_dual_add_f32 v44, v51, v48 :: v_dual_add_f32 v41, v45, v41
	v_sub_f32_e32 v45, v44, v51
	s_delay_alu instid0(VALU_DEP_2) | instskip(NEXT) | instid1(VALU_DEP_2)
	v_add_f32_e32 v41, v52, v41
	v_sub_f32_e32 v45, v48, v45
	s_delay_alu instid0(VALU_DEP_2) | instskip(NEXT) | instid1(VALU_DEP_1)
	v_mul_f32_e32 v41, v43, v41
	v_add_f32_e32 v41, v45, v41
	s_delay_alu instid0(VALU_DEP_1) | instskip(NEXT) | instid1(VALU_DEP_1)
	v_add_f32_e32 v43, v44, v41
	v_mul_f32_e32 v45, v43, v43
	s_delay_alu instid0(VALU_DEP_1) | instskip(SKIP_2) | instid1(VALU_DEP_3)
	v_fmaak_f32 v48, s2, v45, 0x3ecc95a3
	v_mul_f32_e32 v49, v43, v45
	v_cmp_eq_f32_e64 s2, 0x7f800000, v42
	v_fmaak_f32 v45, v45, v48, 0x3f2aaada
	v_ldexp_f32 v48, v43, 1
	v_sub_f32_e32 v43, v43, v44
	s_delay_alu instid0(VALU_DEP_4) | instskip(NEXT) | instid1(VALU_DEP_3)
	s_or_b32 s2, s3, s2
	v_mul_f32_e32 v45, v49, v45
	v_mul_f32_e32 v49, 0x3f317218, v40
	s_delay_alu instid0(VALU_DEP_2) | instskip(NEXT) | instid1(VALU_DEP_1)
	v_dual_sub_f32 v41, v41, v43 :: v_dual_add_f32 v44, v48, v45
	v_ldexp_f32 v41, v41, 1
	s_delay_alu instid0(VALU_DEP_2) | instskip(NEXT) | instid1(VALU_DEP_4)
	v_sub_f32_e32 v43, v44, v48
	v_fma_f32 v48, 0x3f317218, v40, -v49
	s_delay_alu instid0(VALU_DEP_1) | instskip(NEXT) | instid1(VALU_DEP_1)
	v_dual_sub_f32 v43, v45, v43 :: v_dual_fmamk_f32 v40, v40, 0xb102e308, v48
	v_add_f32_e32 v41, v41, v43
	s_delay_alu instid0(VALU_DEP_2) | instskip(NEXT) | instid1(VALU_DEP_2)
	v_add_f32_e32 v43, v49, v40
	v_add_f32_e32 v45, v44, v41
	s_delay_alu instid0(VALU_DEP_2) | instskip(NEXT) | instid1(VALU_DEP_2)
	v_sub_f32_e32 v49, v43, v49
	v_add_f32_e32 v48, v43, v45
	v_sub_f32_e32 v44, v45, v44
	s_delay_alu instid0(VALU_DEP_3) | instskip(NEXT) | instid1(VALU_DEP_2)
	v_sub_f32_e32 v40, v40, v49
	v_dual_sub_f32 v50, v48, v43 :: v_dual_sub_f32 v41, v41, v44
	s_delay_alu instid0(VALU_DEP_1) | instskip(NEXT) | instid1(VALU_DEP_2)
	v_sub_f32_e32 v51, v48, v50
	v_dual_sub_f32 v44, v45, v50 :: v_dual_add_f32 v45, v40, v41
	s_delay_alu instid0(VALU_DEP_2) | instskip(NEXT) | instid1(VALU_DEP_1)
	v_sub_f32_e32 v43, v43, v51
	v_dual_add_f32 v43, v44, v43 :: v_dual_sub_f32 v44, v45, v40
	s_delay_alu instid0(VALU_DEP_1) | instskip(NEXT) | instid1(VALU_DEP_2)
	v_add_f32_e32 v43, v45, v43
	v_sub_f32_e32 v45, v45, v44
	v_sub_f32_e32 v41, v41, v44
	s_delay_alu instid0(VALU_DEP_3) | instskip(NEXT) | instid1(VALU_DEP_3)
	v_add_f32_e32 v49, v48, v43
	v_sub_f32_e32 v40, v40, v45
	s_delay_alu instid0(VALU_DEP_2) | instskip(NEXT) | instid1(VALU_DEP_2)
	v_sub_f32_e32 v44, v49, v48
	v_add_f32_e32 v40, v41, v40
	s_delay_alu instid0(VALU_DEP_2) | instskip(NEXT) | instid1(VALU_DEP_1)
	v_sub_f32_e32 v41, v43, v44
	v_add_f32_e32 v40, v40, v41
	s_delay_alu instid0(VALU_DEP_1) | instskip(NEXT) | instid1(VALU_DEP_1)
	v_add_f32_e32 v40, v49, v40
	v_cndmask_b32_e64 v40, v40, v42, s2
.LBB4_4:
	s_or_b32 exec_lo, exec_lo, s4
	s_load_b128 s[20:23], s[0:1], 0x70
	s_mul_i32 s0, s14, s7
	s_delay_alu instid0(VALU_DEP_1) | instskip(SKIP_2) | instid1(VALU_DEP_3)
	v_dual_mov_b32 v45, 0 :: v_dual_mul_f32 v44, v40, v15
	v_mul_f32_e32 v41, v40, v13
	v_mul_f32_e32 v51, v40, v11
	v_dual_mul_f32 v49, v40, v9 :: v_dual_mul_f32 v80, 0x3fb8aa3b, v44
	s_delay_alu instid0(VALU_DEP_3) | instskip(SKIP_1) | instid1(VALU_DEP_4)
	v_dual_mul_f32 v43, v40, v14 :: v_dual_mul_f32 v78, 0x3fb8aa3b, v41
	v_mul_f32_e32 v48, v40, v16
	v_mul_f32_e32 v84, 0x3fb8aa3b, v51
	s_delay_alu instid0(VALU_DEP_3) | instskip(NEXT) | instid1(VALU_DEP_3)
	v_dual_mul_f32 v82, 0x3fb8aa3b, v49 :: v_dual_mul_f32 v79, 0x3fb8aa3b, v43
	v_dual_mul_f32 v50, v40, v10 :: v_dual_mul_f32 v81, 0x3fb8aa3b, v48
	v_mul_f32_e32 v52, v40, v12
	v_fma_f32 v101, 0x3fb8aa3b, v41, -v78
	s_delay_alu instid0(VALU_DEP_4) | instskip(NEXT) | instid1(VALU_DEP_4)
	v_fma_f32 v103, 0x3fb8aa3b, v43, -v79
	v_mul_f32_e32 v83, 0x3fb8aa3b, v50
	s_waitcnt lgkmcnt(0)
	s_mul_i32 s1, s14, s23
	s_mul_hi_u32 s2, s14, s22
	s_mul_i32 s3, s14, s22
	s_add_i32 s1, s2, s1
	s_mul_hi_u32 s2, s3, 12
	s_mul_i32 s1, s1, 12
	s_mul_i32 s3, s3, 12
	s_add_i32 s2, s2, s1
	s_add_u32 s1, s30, s3
	s_addc_u32 s3, s31, s2
	s_ashr_i32 s2, s11, 2
	s_add_u32 s0, s18, s0
	s_addc_u32 s4, s19, 0
	s_add_u32 s16, s0, s12
	s_addc_u32 s17, s4, s13
	v_dual_mul_f32 v86, v40, v6 :: v_dual_mul_f32 v85, 0x3fb8aa3b, v52
	global_load_b32 v42, v39, s[16:17]
	v_mul_f32_e32 v53, v40, v5
	v_rndne_f32_e32 v104, v79
	v_mul_f32_e32 v94, 0x3fb8aa3b, v86
	v_mul_f32_e32 v88, v40, v8
	v_rndne_f32_e32 v102, v78
	v_mul_f32_e32 v93, 0x3fb8aa3b, v53
	;; [unrolled: 3-line block ×5, first 2 shown]
	v_mul_f32_e32 v92, v40, v4
	v_fma_f32 v113, 0x3fb8aa3b, v51, -v84
	v_mul_f32_e32 v97, 0x3fb8aa3b, v89
	v_mul_f32_e32 v91, v40, v3
	v_rndne_f32_e32 v114, v84
	v_mul_f32_e32 v100, 0x3fb8aa3b, v92
	v_fmac_f32_e32 v103, 0x32a5705f, v43
	v_sub_f32_e32 v79, v79, v104
	v_dual_mul_f32 v99, 0x3fb8aa3b, v91 :: v_dual_sub_f32 v78, v78, v102
	v_fma_f32 v105, 0x3fb8aa3b, v44, -v80
	v_fma_f32 v107, 0x3fb8aa3b, v48, -v81
	;; [unrolled: 1-line block ×4, first 2 shown]
	v_rndne_f32_e32 v120, v94
	v_fmac_f32_e32 v101, 0x32a5705f, v41
	v_add_f32_e32 v103, v79, v103
	v_fmac_f32_e32 v113, 0x32a5705f, v51
	v_rndne_f32_e32 v127, v99
	v_dual_sub_f32 v79, v80, v106 :: v_dual_sub_f32 v80, v81, v108
	v_fma_f32 v128, 0x3fb8aa3b, v92, -v100
	v_sub_f32_e32 v81, v82, v110
	v_sub_f32_e32 v82, v84, v114
	ds_load_b128 v[54:57], v45
	ds_load_b128 v[58:61], v45 offset:16
	ds_load_b128 v[62:65], v45 offset:32
	;; [unrolled: 1-line block ×5, first 2 shown]
	v_fma_f32 v123, 0x3fb8aa3b, v88, -v96
	v_fmac_f32_e32 v128, 0x32a5705f, v92
	v_rndne_f32_e32 v124, v96
	v_add_f32_e32 v113, v82, v113
	v_dual_fmac_f32 v119, 0x32a5705f, v86 :: v_dual_sub_f32 v82, v94, v120
	v_fmac_f32_e32 v107, 0x32a5705f, v48
	v_fma_f32 v111, 0x3fb8aa3b, v50, -v83
	v_rndne_f32_e32 v112, v83
	v_fma_f32 v115, 0x3fb8aa3b, v52, -v85
	v_rndne_f32_e32 v116, v85
	v_dual_add_f32 v101, v78, v101 :: v_dual_sub_f32 v84, v96, v124
	v_fmac_f32_e32 v123, 0x32a5705f, v88
	v_dual_fmac_f32 v109, 0x32a5705f, v49 :: v_dual_add_f32 v96, v82, v119
	v_add_f32_e32 v107, v80, v107
	v_fma_f32 v80, 0x3fb8aa3b, v91, -v99
	v_fmac_f32_e32 v105, 0x32a5705f, v44
	v_fma_f32 v117, 0x3fb8aa3b, v53, -v93
	v_rndne_f32_e32 v118, v93
	v_fma_f32 v121, 0x3fb8aa3b, v87, -v95
	v_fmac_f32_e32 v80, 0x32a5705f, v91
	v_rndne_f32_e32 v122, v95
	v_fma_f32 v78, 0x3fb8aa3b, v89, -v97
	v_rndne_f32_e32 v125, v97
	v_rndne_f32_e32 v126, v98
	v_add_f32_e32 v109, v81, v109
	v_fmac_f32_e32 v111, 0x32a5705f, v50
	v_sub_f32_e32 v81, v83, v112
	v_fmac_f32_e32 v115, 0x32a5705f, v52
	v_dual_sub_f32 v83, v85, v116 :: v_dual_sub_f32 v94, v99, v127
	v_add_f32_e32 v105, v79, v105
	v_fma_f32 v79, 0x3fb8aa3b, v90, -v98
	v_add_f32_e32 v111, v81, v111
	s_delay_alu instid0(VALU_DEP_4)
	v_add_f32_e32 v115, v83, v115
	v_rndne_f32_e32 v129, v100
	v_fmac_f32_e32 v117, 0x32a5705f, v53
	v_sub_f32_e32 v81, v93, v118
	v_fmac_f32_e32 v121, 0x32a5705f, v87
	v_dual_sub_f32 v83, v95, v122 :: v_dual_fmac_f32 v78, 0x32a5705f, v89
	v_sub_f32_e32 v85, v97, v125
	v_fmac_f32_e32 v79, 0x32a5705f, v90
	v_sub_f32_e32 v93, v98, v126
	v_exp_f32_e32 v101, v101
	v_add_f32_e32 v95, v81, v117
	v_dual_add_f32 v97, v83, v121 :: v_dual_add_f32 v98, v84, v123
	v_add_f32_e32 v99, v85, v78
	v_dual_add_f32 v93, v93, v79 :: v_dual_add_f32 v94, v94, v80
	ds_load_b128 v[78:81], v45 offset:96
	ds_load_b128 v[82:85], v45 offset:112
	v_sub_f32_e32 v45, v100, v129
	v_cvt_i32_f32_e32 v100, v102
	v_exp_f32_e32 v103, v103
	v_cvt_i32_f32_e32 v102, v104
	v_exp_f32_e32 v105, v105
	v_cmp_ngt_f32_e64 s0, 0xc2ce8ed0, v41
	v_ldexp_f32 v100, v101, v100
	v_cvt_i32_f32_e32 v104, v106
	v_exp_f32_e32 v107, v107
	v_cvt_i32_f32_e32 v106, v108
	v_exp_f32_e32 v109, v109
	v_cndmask_b32_e64 v100, 0, v100, s0
	v_ldexp_f32 v101, v103, v102
	v_cmp_ngt_f32_e64 s0, 0xc2ce8ed0, v43
	v_ldexp_f32 v102, v105, v104
	v_cvt_i32_f32_e32 v108, v110
	v_exp_f32_e32 v111, v111
	v_cvt_i32_f32_e32 v110, v112
	v_cndmask_b32_e64 v101, 0, v101, s0
	v_cmp_ngt_f32_e64 s0, 0xc2ce8ed0, v44
	v_ldexp_f32 v103, v107, v106
	v_exp_f32_e32 v113, v113
	v_ldexp_f32 v104, v109, v108
	v_cvt_i32_f32_e32 v112, v114
	v_cndmask_b32_e64 v102, 0, v102, s0
	v_cmp_ngt_f32_e64 s0, 0xc2ce8ed0, v48
	v_exp_f32_e32 v115, v115
	v_ldexp_f32 v105, v111, v110
	v_cvt_i32_f32_e32 v114, v116
	v_exp_f32_e32 v95, v95
	v_cndmask_b32_e64 v103, 0, v103, s0
	v_cmp_ngt_f32_e64 s0, 0xc2ce8ed0, v49
	v_ldexp_f32 v106, v113, v112
	v_cvt_i32_f32_e32 v116, v118
	v_exp_f32_e32 v96, v96
	v_cvt_i32_f32_e32 v117, v120
	v_cndmask_b32_e64 v104, 0, v104, s0
	v_cmp_ngt_f32_e64 s0, 0xc2ce8ed0, v50
	v_ldexp_f32 v107, v115, v114
	v_exp_f32_e32 v97, v97
	v_ldexp_f32 v95, v95, v116
	v_cvt_i32_f32_e32 v118, v122
	v_cndmask_b32_e64 v105, 0, v105, s0
	v_cmp_ngt_f32_e64 s0, 0xc2ce8ed0, v51
	v_exp_f32_e32 v98, v98
	v_ldexp_f32 v96, v96, v117
	v_cvt_i32_f32_e32 v119, v124
	v_exp_f32_e32 v99, v99
	v_cndmask_b32_e64 v106, 0, v106, s0
	v_cmp_ngt_f32_e64 s0, 0xc2ce8ed0, v52
	v_ldexp_f32 v97, v97, v118
	v_cvt_i32_f32_e32 v120, v125
	v_exp_f32_e32 v93, v93
	v_cvt_i32_f32_e32 v121, v126
	v_cndmask_b32_e64 v107, 0, v107, s0
	v_cmp_ngt_f32_e64 s0, 0xc2ce8ed0, v53
	v_ldexp_f32 v98, v98, v119
	v_exp_f32_e32 v94, v94
	v_ldexp_f32 v99, v99, v120
	v_cvt_i32_f32_e32 v122, v127
	v_cndmask_b32_e64 v95, 0, v95, s0
	v_cmp_ngt_f32_e64 s0, 0xc2ce8ed0, v86
	v_add_f32_e32 v45, v45, v128
	v_ldexp_f32 v93, v93, v121
	v_cvt_i32_f32_e32 v123, v129
	s_delay_alu instid0(VALU_DEP_4) | instskip(SKIP_3) | instid1(VALU_DEP_2)
	v_cndmask_b32_e64 v96, 0, v96, s0
	v_cmp_ngt_f32_e64 s0, 0xc2ce8ed0, v87
	v_exp_f32_e32 v45, v45
	v_ldexp_f32 v94, v94, v122
	v_cndmask_b32_e64 v97, 0, v97, s0
	v_cmp_ngt_f32_e64 s0, 0xc2ce8ed0, v88
	s_delay_alu instid0(VALU_DEP_1)
	v_cndmask_b32_e64 v98, 0, v98, s0
	v_cmp_ngt_f32_e64 s0, 0xc2ce8ed0, v89
	s_waitcnt_depctr 0xfff
	v_ldexp_f32 v45, v45, v123
	v_cndmask_b32_e64 v99, 0, v99, s0
	v_cmp_ngt_f32_e64 s0, 0xc2ce8ed0, v90
	s_delay_alu instid0(VALU_DEP_1) | instskip(SKIP_1) | instid1(VALU_DEP_1)
	v_cndmask_b32_e64 v93, 0, v93, s0
	v_cmp_ngt_f32_e64 s0, 0xc2ce8ed0, v91
	v_cndmask_b32_e64 v94, 0, v94, s0
	v_cmp_nlt_f32_e64 s0, 0x42b17218, v41
	s_delay_alu instid0(VALU_DEP_1) | instskip(SKIP_4) | instid1(VALU_DEP_1)
	v_cndmask_b32_e64 v41, 0x7f800000, v100, s0
	v_cmp_ngt_f32_e64 s0, 0xc2ce8ed0, v92
	s_waitcnt vmcnt(0)
	v_mul_f32_e32 v108, v40, v42
	s_waitcnt lgkmcnt(7)
	v_mul_f32_e32 v40, v108, v54
	v_cndmask_b32_e64 v54, 0, v45, s0
	v_cmp_nlt_f32_e64 s0, 0x42b17218, v43
	v_mul_f32_e32 v45, v108, v55
	s_waitcnt lgkmcnt(4)
	v_dual_mul_f32 v43, v108, v66 :: v_dual_fmac_f32 v40, v29, v41
	v_mul_f32_e32 v29, v108, v56
	v_cndmask_b32_e64 v42, 0x7f800000, v101, s0
	v_cmp_nlt_f32_e64 s0, 0x42b17218, v44
	v_mul_f32_e32 v44, v108, v68
	s_waitcnt lgkmcnt(3)
	v_fma_f32 v55, v70, v40, 0
	v_fmac_f32_e32 v45, v30, v42
	v_cndmask_b32_e64 v41, 0x7f800000, v102, s0
	v_cmp_nlt_f32_e64 s0, 0x42b17218, v48
	v_mul_f32_e32 v30, v108, v57
	s_delay_alu instid0(VALU_DEP_4) | instskip(NEXT) | instid1(VALU_DEP_4)
	v_fmac_f32_e32 v55, v71, v45
	v_fmac_f32_e32 v29, v31, v41
	s_delay_alu instid0(VALU_DEP_4) | instskip(SKIP_2) | instid1(VALU_DEP_4)
	v_cndmask_b32_e64 v42, 0x7f800000, v103, s0
	v_cmp_nlt_f32_e64 s0, 0x42b17218, v49
	v_mul_f32_e32 v31, v108, v58
	v_fmac_f32_e32 v55, v72, v29
	s_delay_alu instid0(VALU_DEP_4) | instskip(NEXT) | instid1(VALU_DEP_4)
	v_fmac_f32_e32 v30, v32, v42
	v_cndmask_b32_e64 v41, 0x7f800000, v104, s0
	v_cmp_nlt_f32_e64 s0, 0x42b17218, v50
	s_delay_alu instid0(VALU_DEP_3) | instskip(NEXT) | instid1(VALU_DEP_3)
	v_dual_mul_f32 v32, v108, v59 :: v_dual_fmac_f32 v55, v73, v30
	v_fmac_f32_e32 v31, v25, v41
	s_delay_alu instid0(VALU_DEP_3)
	v_cndmask_b32_e64 v42, 0x7f800000, v105, s0
	v_cmp_nlt_f32_e64 s0, 0x42b17218, v51
	v_mul_f32_e32 v25, v108, v60
	s_waitcnt lgkmcnt(2)
	v_fmac_f32_e32 v55, v74, v31
	v_fmac_f32_e32 v32, v26, v42
	v_cndmask_b32_e64 v41, 0x7f800000, v106, s0
	v_cmp_nlt_f32_e64 s0, 0x42b17218, v52
	s_delay_alu instid0(VALU_DEP_3) | instskip(NEXT) | instid1(VALU_DEP_3)
	v_dual_mul_f32 v26, v108, v61 :: v_dual_fmac_f32 v55, v75, v32
	v_fmac_f32_e32 v25, v27, v41
	s_delay_alu instid0(VALU_DEP_3) | instskip(SKIP_2) | instid1(VALU_DEP_4)
	v_cndmask_b32_e64 v42, 0x7f800000, v107, s0
	v_cmp_nlt_f32_e64 s0, 0x42b17218, v53
	v_mul_f32_e32 v27, v108, v62
	v_fmac_f32_e32 v55, v76, v25
	s_delay_alu instid0(VALU_DEP_4) | instskip(NEXT) | instid1(VALU_DEP_4)
	v_fmac_f32_e32 v26, v28, v42
	v_cndmask_b32_e64 v41, 0x7f800000, v95, s0
	v_cmp_nlt_f32_e64 s0, 0x42b17218, v86
	s_delay_alu instid0(VALU_DEP_3) | instskip(NEXT) | instid1(VALU_DEP_3)
	v_dual_mul_f32 v28, v108, v63 :: v_dual_fmac_f32 v55, v77, v26
	v_fmac_f32_e32 v27, v21, v41
	s_delay_alu instid0(VALU_DEP_3)
	v_cndmask_b32_e64 v42, 0x7f800000, v96, s0
	v_cmp_nlt_f32_e64 s0, 0x42b17218, v87
	v_mul_f32_e32 v41, v108, v64
	s_waitcnt lgkmcnt(1)
	v_fmac_f32_e32 v55, v78, v27
	v_fmac_f32_e32 v28, v22, v42
	v_cndmask_b32_e64 v21, 0x7f800000, v97, s0
	v_cmp_nlt_f32_e64 s0, 0x42b17218, v88
	s_delay_alu instid0(VALU_DEP_3) | instskip(NEXT) | instid1(VALU_DEP_3)
	v_dual_mul_f32 v42, v108, v65 :: v_dual_fmac_f32 v55, v79, v28
	v_fmac_f32_e32 v41, v23, v21
	s_delay_alu instid0(VALU_DEP_3) | instskip(SKIP_2) | instid1(VALU_DEP_4)
	v_cndmask_b32_e64 v22, 0x7f800000, v98, s0
	v_cmp_nlt_f32_e64 s0, 0x42b17218, v89
	v_mul_f32_e32 v23, v108, v69
	v_fmac_f32_e32 v55, v80, v41
	s_delay_alu instid0(VALU_DEP_4) | instskip(NEXT) | instid1(VALU_DEP_4)
	v_fmac_f32_e32 v42, v24, v22
	v_cndmask_b32_e64 v21, 0x7f800000, v99, s0
	v_cmp_nlt_f32_e64 s0, 0x42b17218, v90
	s_delay_alu instid0(VALU_DEP_3) | instskip(NEXT) | instid1(VALU_DEP_3)
	v_dual_mul_f32 v24, v108, v67 :: v_dual_fmac_f32 v55, v81, v42
	v_fmac_f32_e32 v43, v17, v21
	s_delay_alu instid0(VALU_DEP_3) | instskip(SKIP_2) | instid1(VALU_DEP_3)
	v_cndmask_b32_e64 v22, 0x7f800000, v93, s0
	v_cmp_nlt_f32_e64 s0, 0x42b17218, v91
	s_waitcnt lgkmcnt(0)
	v_fmac_f32_e32 v55, v82, v43
	s_delay_alu instid0(VALU_DEP_3) | instskip(NEXT) | instid1(VALU_DEP_3)
	v_fmac_f32_e32 v24, v18, v22
	v_cndmask_b32_e64 v17, 0x7f800000, v94, s0
	v_cmp_nlt_f32_e64 s0, 0x42b17218, v92
	s_delay_alu instid0(VALU_DEP_3) | instskip(NEXT) | instid1(VALU_DEP_3)
	v_fmac_f32_e32 v55, v83, v24
	v_fmac_f32_e32 v44, v19, v17
	s_delay_alu instid0(VALU_DEP_3) | instskip(SKIP_3) | instid1(VALU_DEP_2)
	v_cndmask_b32_e64 v18, 0x7f800000, v54, s0
	s_add_u32 s0, s1, s12
	s_addc_u32 s1, s3, s13
	v_add_co_u32 v19, s3, s16, v39
	v_fmac_f32_e32 v23, v20, v18
	v_fmac_f32_e32 v55, v84, v44
	v_add_co_u32 v21, s4, s0, v39
	v_add_co_ci_u32_e64 v20, null, s17, 0, s3
	s_delay_alu instid0(VALU_DEP_3)
	v_fmac_f32_e32 v55, v85, v23
	v_add_co_ci_u32_e64 v22, null, s1, 0, s4
	s_ashr_i32 s10, s37, 2
	s_ashr_i32 s3, s2, 31
	;; [unrolled: 1-line block ×3, first 2 shown]
	global_store_b32 v39, v55, s[0:1]
	s_waitcnt_vscnt null, 0x0
	s_barrier
	buffer_gl0_inv
	s_and_saveexec_b32 s1, vcc_lo
	s_cbranch_execz .LBB4_6
; %bb.5:
	s_lshl_b64 s[12:13], s[2:3], 2
	s_delay_alu instid0(SALU_CYCLE_1) | instskip(NEXT) | instid1(VALU_DEP_1)
	v_add_co_u32 v17, s0, v37, s12
	v_add_co_ci_u32_e64 v18, s0, s13, v38, s0
	s_lshl_b64 s[12:13], s[10:11], 2
	s_delay_alu instid0(SALU_CYCLE_1) | instskip(NEXT) | instid1(VALU_DEP_1)
	v_add_co_u32 v48, s0, v35, s12
	v_add_co_ci_u32_e64 v49, s0, s13, v36, s0
	global_load_b32 v17, v[17:18], off
	global_load_b32 v18, v[48:49], off
	s_waitcnt vmcnt(1)
	ds_store_b32 v39, v17
	s_waitcnt vmcnt(0)
	ds_store_b32 v0, v18
.LBB4_6:
	s_or_b32 exec_lo, exec_lo, s1
	s_ashr_i32 s0, s8, 2
	s_waitcnt lgkmcnt(0)
	s_ashr_i32 s1, s0, 31
	s_barrier
	s_lshl_b64 s[8:9], s[0:1], 2
	buffer_gl0_inv
	v_add_co_u32 v17, s0, v46, s8
	s_delay_alu instid0(VALU_DEP_1)
	v_add_co_ci_u32_e64 v18, s0, s9, v47, s0
	s_mov_b32 s4, exec_lo
	global_load_b32 v46, v[17:18], off
	s_waitcnt vmcnt(0)
	v_cmpx_ge_f32_e32 0x41a00000, v46
	s_cbranch_execz .LBB4_8
; %bb.7:
	v_mul_f32_e32 v47, 0x3fb8aa3b, v46
	v_cmp_ngt_f32_e64 s0, 0xc2ce8ed0, v46
	s_delay_alu instid0(VALU_DEP_2) | instskip(SKIP_1) | instid1(VALU_DEP_2)
	v_rndne_f32_e32 v48, v47
	v_fma_f32 v49, 0x3fb8aa3b, v46, -v47
	v_sub_f32_e32 v47, v47, v48
	s_delay_alu instid0(VALU_DEP_2) | instskip(SKIP_1) | instid1(VALU_DEP_2)
	v_fmamk_f32 v49, v46, 0x32a5705f, v49
	v_cvt_i32_f32_e32 v48, v48
	v_add_f32_e32 v47, v47, v49
	s_delay_alu instid0(VALU_DEP_1) | instskip(SKIP_2) | instid1(VALU_DEP_1)
	v_exp_f32_e32 v47, v47
	s_waitcnt_depctr 0xfff
	v_ldexp_f32 v47, v47, v48
	v_cndmask_b32_e64 v47, 0, v47, s0
	v_cmp_nlt_f32_e64 s0, 0x42b17218, v46
	s_delay_alu instid0(VALU_DEP_1) | instskip(NEXT) | instid1(VALU_DEP_1)
	v_cndmask_b32_e64 v48, 0x7f800000, v47, s0
	v_add_f32_e32 v49, 1.0, v48
	v_cmp_gt_f32_e64 s1, 0x33800000, v48
	s_delay_alu instid0(VALU_DEP_2) | instskip(NEXT) | instid1(VALU_DEP_1)
	v_cvt_f64_f32_e32 v[46:47], v49
	v_frexp_exp_i32_f64_e32 v46, v[46:47]
	v_frexp_mant_f32_e32 v47, v49
	s_delay_alu instid0(VALU_DEP_1) | instskip(SKIP_1) | instid1(VALU_DEP_1)
	v_cmp_gt_f32_e64 s0, 0x3f2aaaab, v47
	v_add_f32_e32 v47, -1.0, v49
	v_sub_f32_e32 v51, v47, v49
	v_sub_f32_e32 v47, v48, v47
	s_delay_alu instid0(VALU_DEP_2) | instskip(NEXT) | instid1(VALU_DEP_1)
	v_add_f32_e32 v51, 1.0, v51
	v_add_f32_e32 v47, v47, v51
	v_subrev_co_ci_u32_e64 v46, s0, 0, v46, s0
	s_mov_b32 s0, 0x3e9b6dac
	s_delay_alu instid0(VALU_DEP_1) | instskip(SKIP_1) | instid1(VALU_DEP_2)
	v_sub_nc_u32_e32 v50, 0, v46
	v_cvt_f32_i32_e32 v46, v46
	v_ldexp_f32 v49, v49, v50
	v_ldexp_f32 v47, v47, v50
	s_delay_alu instid0(VALU_DEP_2) | instskip(NEXT) | instid1(VALU_DEP_1)
	v_add_f32_e32 v52, 1.0, v49
	v_dual_add_f32 v50, -1.0, v49 :: v_dual_add_f32 v51, -1.0, v52
	s_delay_alu instid0(VALU_DEP_1) | instskip(NEXT) | instid1(VALU_DEP_2)
	v_add_f32_e32 v53, 1.0, v50
	v_sub_f32_e32 v51, v49, v51
	s_delay_alu instid0(VALU_DEP_2) | instskip(NEXT) | instid1(VALU_DEP_2)
	v_sub_f32_e32 v49, v49, v53
	v_add_f32_e32 v51, v47, v51
	s_delay_alu instid0(VALU_DEP_1) | instskip(NEXT) | instid1(VALU_DEP_3)
	v_add_f32_e32 v53, v52, v51
	v_add_f32_e32 v47, v47, v49
	s_delay_alu instid0(VALU_DEP_2) | instskip(NEXT) | instid1(VALU_DEP_1)
	v_rcp_f32_e32 v49, v53
	v_add_f32_e32 v54, v50, v47
	v_sub_f32_e32 v52, v52, v53
	s_delay_alu instid0(VALU_DEP_1) | instskip(SKIP_2) | instid1(VALU_DEP_1)
	v_dual_sub_f32 v50, v50, v54 :: v_dual_add_f32 v51, v51, v52
	s_waitcnt_depctr 0xfff
	v_mul_f32_e32 v55, v54, v49
	v_dual_add_f32 v47, v47, v50 :: v_dual_mul_f32 v56, v53, v55
	s_delay_alu instid0(VALU_DEP_1) | instskip(NEXT) | instid1(VALU_DEP_1)
	v_fma_f32 v52, v55, v53, -v56
	v_fmac_f32_e32 v52, v55, v51
	s_delay_alu instid0(VALU_DEP_1) | instskip(NEXT) | instid1(VALU_DEP_1)
	v_add_f32_e32 v57, v56, v52
	v_sub_f32_e32 v58, v54, v57
	v_sub_f32_e32 v50, v57, v56
	s_delay_alu instid0(VALU_DEP_2) | instskip(NEXT) | instid1(VALU_DEP_2)
	v_sub_f32_e32 v54, v54, v58
	v_sub_f32_e32 v50, v50, v52
	s_delay_alu instid0(VALU_DEP_2) | instskip(NEXT) | instid1(VALU_DEP_1)
	v_sub_f32_e32 v54, v54, v57
	v_add_f32_e32 v47, v47, v54
	s_delay_alu instid0(VALU_DEP_1) | instskip(NEXT) | instid1(VALU_DEP_1)
	v_add_f32_e32 v47, v50, v47
	v_add_f32_e32 v50, v58, v47
	s_delay_alu instid0(VALU_DEP_1) | instskip(NEXT) | instid1(VALU_DEP_1)
	v_mul_f32_e32 v52, v49, v50
	v_dual_sub_f32 v57, v58, v50 :: v_dual_mul_f32 v54, v53, v52
	s_delay_alu instid0(VALU_DEP_1) | instskip(NEXT) | instid1(VALU_DEP_2)
	v_add_f32_e32 v47, v47, v57
	v_fma_f32 v53, v52, v53, -v54
	s_delay_alu instid0(VALU_DEP_1) | instskip(NEXT) | instid1(VALU_DEP_1)
	v_fmac_f32_e32 v53, v52, v51
	v_add_f32_e32 v51, v54, v53
	s_delay_alu instid0(VALU_DEP_1) | instskip(SKIP_1) | instid1(VALU_DEP_2)
	v_sub_f32_e32 v56, v50, v51
	v_sub_f32_e32 v54, v51, v54
	;; [unrolled: 1-line block ×3, first 2 shown]
	s_delay_alu instid0(VALU_DEP_1) | instskip(NEXT) | instid1(VALU_DEP_3)
	v_sub_f32_e32 v50, v50, v51
	v_sub_f32_e32 v51, v54, v53
	s_delay_alu instid0(VALU_DEP_2) | instskip(SKIP_1) | instid1(VALU_DEP_2)
	v_add_f32_e32 v47, v47, v50
	v_add_f32_e32 v50, v55, v52
	;; [unrolled: 1-line block ×3, first 2 shown]
	s_delay_alu instid0(VALU_DEP_2) | instskip(NEXT) | instid1(VALU_DEP_2)
	v_sub_f32_e32 v51, v50, v55
	v_add_f32_e32 v47, v56, v47
	s_delay_alu instid0(VALU_DEP_2) | instskip(NEXT) | instid1(VALU_DEP_2)
	v_sub_f32_e32 v51, v52, v51
	v_mul_f32_e32 v47, v49, v47
	s_delay_alu instid0(VALU_DEP_1) | instskip(NEXT) | instid1(VALU_DEP_1)
	v_add_f32_e32 v47, v51, v47
	v_add_f32_e32 v49, v50, v47
	s_delay_alu instid0(VALU_DEP_1) | instskip(NEXT) | instid1(VALU_DEP_1)
	v_mul_f32_e32 v51, v49, v49
	v_fmaak_f32 v52, s0, v51, 0x3ecc95a3
	v_mul_f32_e32 v53, v49, v51
	v_cmp_eq_f32_e64 s0, 0x7f800000, v48
	s_delay_alu instid0(VALU_DEP_3) | instskip(SKIP_2) | instid1(VALU_DEP_4)
	v_fmaak_f32 v51, v51, v52, 0x3f2aaada
	v_ldexp_f32 v52, v49, 1
	v_sub_f32_e32 v49, v49, v50
	s_or_b32 s0, s1, s0
	s_delay_alu instid0(VALU_DEP_3) | instskip(SKIP_1) | instid1(VALU_DEP_2)
	v_mul_f32_e32 v51, v53, v51
	v_mul_f32_e32 v53, 0x3f317218, v46
	v_dual_sub_f32 v47, v47, v49 :: v_dual_add_f32 v50, v52, v51
	s_delay_alu instid0(VALU_DEP_1) | instskip(NEXT) | instid1(VALU_DEP_2)
	v_ldexp_f32 v47, v47, 1
	v_sub_f32_e32 v49, v50, v52
	s_delay_alu instid0(VALU_DEP_4) | instskip(NEXT) | instid1(VALU_DEP_1)
	v_fma_f32 v52, 0x3f317218, v46, -v53
	v_dual_sub_f32 v49, v51, v49 :: v_dual_fmamk_f32 v46, v46, 0xb102e308, v52
	s_delay_alu instid0(VALU_DEP_1) | instskip(NEXT) | instid1(VALU_DEP_2)
	v_add_f32_e32 v47, v47, v49
	v_add_f32_e32 v49, v53, v46
	s_delay_alu instid0(VALU_DEP_2) | instskip(NEXT) | instid1(VALU_DEP_2)
	v_add_f32_e32 v51, v50, v47
	v_sub_f32_e32 v53, v49, v53
	s_delay_alu instid0(VALU_DEP_2) | instskip(SKIP_1) | instid1(VALU_DEP_3)
	v_add_f32_e32 v52, v49, v51
	v_sub_f32_e32 v50, v51, v50
	v_sub_f32_e32 v46, v46, v53
	s_delay_alu instid0(VALU_DEP_2) | instskip(NEXT) | instid1(VALU_DEP_1)
	v_dual_sub_f32 v54, v52, v49 :: v_dual_sub_f32 v47, v47, v50
	v_sub_f32_e32 v55, v52, v54
	s_delay_alu instid0(VALU_DEP_2) | instskip(NEXT) | instid1(VALU_DEP_2)
	v_dual_sub_f32 v50, v51, v54 :: v_dual_add_f32 v51, v46, v47
	v_sub_f32_e32 v49, v49, v55
	s_delay_alu instid0(VALU_DEP_1) | instskip(NEXT) | instid1(VALU_DEP_1)
	v_dual_add_f32 v49, v50, v49 :: v_dual_sub_f32 v50, v51, v46
	v_add_f32_e32 v49, v51, v49
	s_delay_alu instid0(VALU_DEP_2) | instskip(SKIP_1) | instid1(VALU_DEP_2)
	v_sub_f32_e32 v51, v51, v50
	v_sub_f32_e32 v47, v47, v50
	v_dual_add_f32 v53, v52, v49 :: v_dual_sub_f32 v46, v46, v51
	s_delay_alu instid0(VALU_DEP_1) | instskip(NEXT) | instid1(VALU_DEP_2)
	v_sub_f32_e32 v50, v53, v52
	v_add_f32_e32 v46, v47, v46
	s_delay_alu instid0(VALU_DEP_2) | instskip(NEXT) | instid1(VALU_DEP_1)
	v_sub_f32_e32 v47, v49, v50
	v_add_f32_e32 v46, v46, v47
	s_delay_alu instid0(VALU_DEP_1) | instskip(NEXT) | instid1(VALU_DEP_1)
	v_add_f32_e32 v46, v53, v46
	v_cndmask_b32_e64 v46, v46, v48, s0
.LBB4_8:
	s_or_b32 exec_lo, exec_lo, s4
	s_ashr_i32 s0, s6, 2
	s_delay_alu instid0(VALU_DEP_1)
	v_dual_mov_b32 v60, 0 :: v_dual_mul_f32 v49, v46, v14
	s_ashr_i32 s1, s0, 31
	v_mul_f32_e32 v51, v46, v16
	s_lshl_b64 s[6:7], s[0:1], 2
	v_mul_f32_e32 v50, v46, v15
	v_add_co_u32 v19, s0, v19, s6
	s_delay_alu instid0(VALU_DEP_1)
	v_add_co_ci_u32_e64 v20, s0, s7, v20, s0
	v_dual_mul_f32 v98, 0x3fb8aa3b, v49 :: v_dual_mul_f32 v53, v46, v10
	v_mul_f32_e32 v100, 0x3fb8aa3b, v51
	global_load_b32 v47, v[19:20], off
	v_mul_f32_e32 v55, v46, v12
	v_dual_mul_f32 v48, v46, v13 :: v_dual_mul_f32 v99, 0x3fb8aa3b, v50
	v_dual_mul_f32 v102, 0x3fb8aa3b, v53 :: v_dual_mul_f32 v57, v46, v6
	s_delay_alu instid0(VALU_DEP_3) | instskip(SKIP_2) | instid1(VALU_DEP_4)
	v_dual_mul_f32 v104, 0x3fb8aa3b, v55 :: v_dual_mul_f32 v59, v46, v8
	v_mul_f32_e32 v54, v46, v11
	v_mul_f32_e32 v52, v46, v9
	;; [unrolled: 1-line block ×3, first 2 shown]
	s_delay_alu instid0(VALU_DEP_4) | instskip(SKIP_2) | instid1(VALU_DEP_3)
	v_dual_mul_f32 v61, v46, v1 :: v_dual_mul_f32 v108, 0x3fb8aa3b, v59
	v_mul_f32_e32 v58, v46, v7
	v_mul_f32_e32 v56, v46, v5
	v_dual_mul_f32 v62, v46, v2 :: v_dual_mul_f32 v109, 0x3fb8aa3b, v61
	v_mul_f32_e32 v63, v46, v3
	v_mul_f32_e32 v97, 0x3fb8aa3b, v48
	ds_load_b128 v[65:68], v60
	ds_load_b128 v[69:72], v60 offset:16
	ds_load_b128 v[73:76], v60 offset:32
	;; [unrolled: 1-line block ×3, first 2 shown]
	v_mul_f32_e32 v110, 0x3fb8aa3b, v62
	v_dual_mul_f32 v64, v46, v4 :: v_dual_mul_f32 v111, 0x3fb8aa3b, v63
	ds_load_b128 v[81:84], v60 offset:64
	ds_load_b128 v[85:88], v60 offset:80
	v_mul_f32_e32 v103, 0x3fb8aa3b, v54
	v_mul_f32_e32 v101, 0x3fb8aa3b, v52
	;; [unrolled: 1-line block ×4, first 2 shown]
	ds_load_b128 v[89:92], v60 offset:96
	ds_load_b128 v[93:96], v60 offset:112
	v_fma_f32 v60, 0x3fb8aa3b, v48, -v97
	v_rndne_f32_e32 v113, v97
	v_mul_f32_e32 v112, 0x3fb8aa3b, v64
	v_fma_f32 v114, 0x3fb8aa3b, v49, -v98
	v_rndne_f32_e32 v115, v98
	v_fma_f32 v116, 0x3fb8aa3b, v50, -v99
	v_sub_f32_e32 v97, v97, v113
	v_rndne_f32_e32 v117, v99
	v_fma_f32 v118, 0x3fb8aa3b, v51, -v100
	v_rndne_f32_e32 v119, v100
	v_fma_f32 v120, 0x3fb8aa3b, v52, -v101
	v_fma_f32 v121, 0x3fb8aa3b, v53, -v102
	v_fma_f32 v122, 0x3fb8aa3b, v54, -v103
	v_fma_f32 v123, 0x3fb8aa3b, v55, -v104
	v_fma_f32 v124, 0x3fb8aa3b, v56, -v105
	v_fma_f32 v125, 0x3fb8aa3b, v57, -v106
	v_fma_f32 v126, 0x3fb8aa3b, v58, -v107
	v_fma_f32 v127, 0x3fb8aa3b, v59, -v108
	v_fma_f32 v128, 0x3fb8aa3b, v61, -v109
	v_fma_f32 v129, 0x3fb8aa3b, v62, -v110
	v_fma_f32 v130, 0x3fb8aa3b, v63, -v111
	v_rndne_f32_e32 v132, v101
	v_rndne_f32_e32 v133, v102
	;; [unrolled: 1-line block ×10, first 2 shown]
	v_dual_fmac_f32 v60, 0x32a5705f, v48 :: v_dual_fmac_f32 v121, 0x32a5705f, v53
	v_fma_f32 v131, 0x3fb8aa3b, v64, -v112
	v_rndne_f32_e32 v141, v110
	v_rndne_f32_e32 v143, v112
	v_dual_fmac_f32 v114, 0x32a5705f, v49 :: v_dual_fmac_f32 v123, 0x32a5705f, v55
	v_dual_fmac_f32 v116, 0x32a5705f, v50 :: v_dual_fmac_f32 v125, 0x32a5705f, v57
	;; [unrolled: 1-line block ×5, first 2 shown]
	v_dual_fmac_f32 v124, 0x32a5705f, v56 :: v_dual_sub_f32 v99, v99, v117
	v_dual_fmac_f32 v126, 0x32a5705f, v58 :: v_dual_sub_f32 v101, v101, v132
	;; [unrolled: 1-line block ×4, first 2 shown]
	v_dual_sub_f32 v98, v98, v115 :: v_dual_sub_f32 v107, v107, v138
	v_dual_sub_f32 v100, v100, v119 :: v_dual_sub_f32 v109, v109, v140
	;; [unrolled: 1-line block ×3, first 2 shown]
	v_sub_f32_e32 v104, v104, v135
	v_sub_f32_e32 v106, v106, v137
	;; [unrolled: 1-line block ×3, first 2 shown]
	v_dual_add_f32 v60, v97, v60 :: v_dual_add_f32 v97, v98, v114
	v_sub_f32_e32 v110, v110, v141
	v_dual_add_f32 v98, v99, v116 :: v_dual_add_f32 v99, v100, v118
	v_sub_f32_e32 v112, v112, v143
	v_dual_add_f32 v100, v101, v120 :: v_dual_add_f32 v101, v102, v121
	v_dual_add_f32 v102, v103, v122 :: v_dual_add_f32 v103, v104, v123
	;; [unrolled: 1-line block ×4, first 2 shown]
	v_exp_f32_e32 v60, v60
	v_cvt_i32_f32_e32 v113, v113
	v_exp_f32_e32 v97, v97
	v_cvt_i32_f32_e32 v115, v115
	v_dual_add_f32 v108, v109, v128 :: v_dual_add_f32 v109, v110, v129
	v_exp_f32_e32 v98, v98
	v_cmp_ngt_f32_e64 s0, 0xc2ce8ed0, v48
	v_cvt_i32_f32_e32 v117, v117
	v_exp_f32_e32 v99, v99
	v_ldexp_f32 v60, v60, v113
	v_cvt_i32_f32_e32 v119, v119
	s_delay_alu instid0(TRANS32_DEP_3) | instskip(SKIP_1) | instid1(VALU_DEP_4)
	v_ldexp_f32 v97, v97, v115
	v_dual_add_f32 v110, v111, v130 :: v_dual_add_f32 v111, v112, v131
	v_cndmask_b32_e64 v60, 0, v60, s0
	v_cmp_ngt_f32_e64 s0, 0xc2ce8ed0, v49
	v_exp_f32_e32 v100, v100
	v_ldexp_f32 v98, v98, v117
	v_cvt_i32_f32_e32 v132, v132
	v_exp_f32_e32 v101, v101
	v_cndmask_b32_e64 v97, 0, v97, s0
	v_cmp_ngt_f32_e64 s0, 0xc2ce8ed0, v50
	v_ldexp_f32 v99, v99, v119
	v_cvt_i32_f32_e32 v133, v133
	v_exp_f32_e32 v102, v102
	v_cvt_i32_f32_e32 v134, v134
	v_cndmask_b32_e64 v98, 0, v98, s0
	v_cmp_ngt_f32_e64 s0, 0xc2ce8ed0, v51
	v_ldexp_f32 v100, v100, v132
	v_exp_f32_e32 v103, v103
	v_ldexp_f32 v101, v101, v133
	v_cvt_i32_f32_e32 v135, v135
	v_cndmask_b32_e64 v99, 0, v99, s0
	v_cmp_ngt_f32_e64 s0, 0xc2ce8ed0, v52
	v_ldexp_f32 v102, v102, v134
	v_cvt_i32_f32_e32 v136, v136
	v_exp_f32_e32 v105, v105
	v_cvt_i32_f32_e32 v137, v137
	v_cndmask_b32_e64 v100, 0, v100, s0
	v_cmp_ngt_f32_e64 s0, 0xc2ce8ed0, v53
	v_ldexp_f32 v103, v103, v135
	v_exp_f32_e32 v106, v106
	v_cvt_i32_f32_e32 v138, v138
	v_exp_f32_e32 v107, v107
	v_cndmask_b32_e64 v101, 0, v101, s0
	v_cmp_ngt_f32_e64 s0, 0xc2ce8ed0, v54
	v_ldexp_f32 v105, v105, v137
	v_cvt_i32_f32_e32 v139, v139
	v_exp_f32_e32 v108, v108
	v_cvt_i32_f32_e32 v140, v140
	v_cndmask_b32_e64 v102, 0, v102, s0
	v_cmp_ngt_f32_e64 s0, 0xc2ce8ed0, v55
	v_ldexp_f32 v106, v106, v138
	v_exp_f32_e32 v109, v109
	v_ldexp_f32 v107, v107, v139
	v_cvt_i32_f32_e32 v141, v141
	v_cndmask_b32_e64 v103, 0, v103, s0
	v_cmp_ngt_f32_e64 s0, 0xc2ce8ed0, v56
	v_exp_f32_e32 v110, v110
	v_ldexp_f32 v108, v108, v140
	v_cvt_i32_f32_e32 v142, v142
	v_exp_f32_e32 v111, v111
	v_cvt_i32_f32_e32 v143, v143
	v_ldexp_f32 v109, v109, v141
	s_mov_b32 s12, 0
	s_mov_b32 s13, s22
	s_waitcnt_depctr 0xfff
	v_ldexp_f32 v110, v110, v142
	v_ldexp_f32 v111, v111, v143
	s_waitcnt vmcnt(0)
	v_mul_f32_e32 v112, v46, v47
	s_waitcnt lgkmcnt(7)
	s_delay_alu instid0(VALU_DEP_1) | instskip(SKIP_4) | instid1(VALU_DEP_1)
	v_mul_f32_e32 v47, v112, v66
	v_exp_f32_e32 v104, v104
	v_mul_f32_e32 v46, v112, v65
	s_waitcnt_depctr 0xfff
	v_ldexp_f32 v104, v104, v136
	v_cndmask_b32_e64 v104, 0, v104, s0
	v_cmp_ngt_f32_e64 s0, 0xc2ce8ed0, v57
	s_delay_alu instid0(VALU_DEP_1) | instskip(SKIP_1) | instid1(VALU_DEP_1)
	v_cndmask_b32_e64 v105, 0, v105, s0
	v_cmp_ngt_f32_e64 s0, 0xc2ce8ed0, v58
	v_cndmask_b32_e64 v106, 0, v106, s0
	v_cmp_ngt_f32_e64 s0, 0xc2ce8ed0, v59
	s_delay_alu instid0(VALU_DEP_1) | instskip(SKIP_1) | instid1(VALU_DEP_1)
	v_cndmask_b32_e64 v107, 0, v107, s0
	v_cmp_ngt_f32_e64 s0, 0xc2ce8ed0, v61
	;; [unrolled: 5-line block ×3, first 2 shown]
	v_cndmask_b32_e64 v110, 0, v110, s0
	v_cmp_nlt_f32_e64 s0, 0x42b17218, v48
	s_delay_alu instid0(VALU_DEP_1) | instskip(SKIP_1) | instid1(VALU_DEP_2)
	v_cndmask_b32_e64 v48, 0x7f800000, v60, s0
	v_cmp_ngt_f32_e64 s0, 0xc2ce8ed0, v64
	v_fmac_f32_e32 v46, v40, v48
	s_delay_alu instid0(VALU_DEP_2) | instskip(SKIP_2) | instid1(VALU_DEP_2)
	v_cndmask_b32_e64 v60, 0, v111, s0
	v_cmp_nlt_f32_e64 s0, 0x42b17218, v49
	v_mul_f32_e32 v40, v112, v67
	v_cndmask_b32_e64 v49, 0x7f800000, v97, s0
	v_cmp_nlt_f32_e64 s0, 0x42b17218, v50
	s_waitcnt lgkmcnt(3)
	v_fma_f32 v50, v81, v46, 0
	s_delay_alu instid0(VALU_DEP_3) | instskip(NEXT) | instid1(VALU_DEP_3)
	v_fmac_f32_e32 v47, v45, v49
	v_cndmask_b32_e64 v48, 0x7f800000, v98, s0
	v_cmp_nlt_f32_e64 s0, 0x42b17218, v51
	s_delay_alu instid0(VALU_DEP_2) | instskip(NEXT) | instid1(VALU_DEP_2)
	v_fmac_f32_e32 v40, v29, v48
	v_cndmask_b32_e64 v49, 0x7f800000, v99, s0
	v_cmp_nlt_f32_e64 s0, 0x42b17218, v52
	v_mul_f32_e32 v29, v112, v69
	s_delay_alu instid0(VALU_DEP_2) | instskip(SKIP_1) | instid1(VALU_DEP_2)
	v_cndmask_b32_e64 v48, 0x7f800000, v100, s0
	v_cmp_nlt_f32_e64 s0, 0x42b17218, v53
	v_fmac_f32_e32 v29, v31, v48
	v_mul_f32_e32 v31, v112, v71
	v_dual_mul_f32 v45, v112, v68 :: v_dual_fmac_f32 v50, v82, v47
	s_delay_alu instid0(VALU_DEP_1) | instskip(SKIP_3) | instid1(VALU_DEP_2)
	v_fmac_f32_e32 v45, v30, v49
	v_cndmask_b32_e64 v49, 0x7f800000, v101, s0
	v_cmp_nlt_f32_e64 s0, 0x42b17218, v54
	v_mul_f32_e32 v30, v112, v70
	v_cndmask_b32_e64 v48, 0x7f800000, v102, s0
	v_cmp_nlt_f32_e64 s0, 0x42b17218, v55
	s_delay_alu instid0(VALU_DEP_3) | instskip(SKIP_1) | instid1(VALU_DEP_4)
	v_fmac_f32_e32 v30, v32, v49
	v_mul_f32_e32 v32, v112, v72
	v_fmac_f32_e32 v31, v25, v48
	s_delay_alu instid0(VALU_DEP_4) | instskip(SKIP_2) | instid1(VALU_DEP_3)
	v_cndmask_b32_e64 v49, 0x7f800000, v103, s0
	v_cmp_nlt_f32_e64 s0, 0x42b17218, v56
	v_dual_mul_f32 v25, v112, v73 :: v_dual_fmac_f32 v50, v83, v40
	v_fmac_f32_e32 v32, v26, v49
	s_delay_alu instid0(VALU_DEP_3) | instskip(SKIP_1) | instid1(VALU_DEP_2)
	v_cndmask_b32_e64 v48, 0x7f800000, v104, s0
	v_cmp_nlt_f32_e64 s0, 0x42b17218, v57
	v_dual_mul_f32 v26, v112, v74 :: v_dual_fmac_f32 v25, v27, v48
	v_mul_f32_e32 v27, v112, v75
	s_delay_alu instid0(VALU_DEP_3) | instskip(SKIP_1) | instid1(VALU_DEP_2)
	v_cndmask_b32_e64 v49, 0x7f800000, v105, s0
	v_cmp_nlt_f32_e64 s0, 0x42b17218, v58
	v_fmac_f32_e32 v26, v28, v49
	s_delay_alu instid0(VALU_DEP_2) | instskip(SKIP_2) | instid1(VALU_DEP_3)
	v_cndmask_b32_e64 v48, 0x7f800000, v106, s0
	v_cmp_nlt_f32_e64 s0, 0x42b17218, v59
	v_mul_f32_e32 v28, v112, v76
	v_fmac_f32_e32 v27, v41, v48
	s_delay_alu instid0(VALU_DEP_3) | instskip(SKIP_2) | instid1(VALU_DEP_3)
	v_cndmask_b32_e64 v49, 0x7f800000, v107, s0
	v_cmp_nlt_f32_e64 s0, 0x42b17218, v61
	v_mul_f32_e32 v41, v112, v77
	v_fmac_f32_e32 v28, v42, v49
	s_delay_alu instid0(VALU_DEP_3) | instskip(SKIP_2) | instid1(VALU_DEP_3)
	v_cndmask_b32_e64 v48, 0x7f800000, v108, s0
	v_fmac_f32_e32 v50, v84, v45
	v_cmp_nlt_f32_e64 s0, 0x42b17218, v62
	v_dual_mul_f32 v42, v112, v78 :: v_dual_fmac_f32 v41, v43, v48
	s_waitcnt lgkmcnt(2)
	s_delay_alu instid0(VALU_DEP_3) | instskip(NEXT) | instid1(VALU_DEP_3)
	v_dual_fmac_f32 v50, v85, v29 :: v_dual_mul_f32 v43, v112, v79
	v_cndmask_b32_e64 v49, 0x7f800000, v109, s0
	v_cmp_nlt_f32_e64 s0, 0x42b17218, v63
	s_delay_alu instid0(VALU_DEP_2) | instskip(NEXT) | instid1(VALU_DEP_2)
	v_fmac_f32_e32 v42, v24, v49
	v_cndmask_b32_e64 v48, 0x7f800000, v110, s0
	v_fmac_f32_e32 v50, v86, v30
	v_cmp_nlt_f32_e64 s0, 0x42b17218, v64
	v_mul_f32_e32 v24, v112, v80
	s_delay_alu instid0(VALU_DEP_3) | instskip(NEXT) | instid1(VALU_DEP_3)
	v_dual_fmac_f32 v43, v44, v48 :: v_dual_fmac_f32 v50, v87, v31
	v_cndmask_b32_e64 v49, 0x7f800000, v60, s0
	s_ashr_i64 s[0:1], s[12:13], 30
	s_delay_alu instid0(SALU_CYCLE_1) | instskip(NEXT) | instid1(VALU_DEP_3)
	v_add_co_u32 v48, s0, v21, s0
	v_fmac_f32_e32 v50, v88, v32
	s_delay_alu instid0(VALU_DEP_3) | instskip(SKIP_2) | instid1(VALU_DEP_3)
	v_fmac_f32_e32 v24, v23, v49
	v_add_co_ci_u32_e64 v49, s0, s1, v22, s0
	s_waitcnt lgkmcnt(1)
	v_fmac_f32_e32 v50, v89, v25
	s_delay_alu instid0(VALU_DEP_1) | instskip(NEXT) | instid1(VALU_DEP_1)
	v_fmac_f32_e32 v50, v90, v26
	v_fmac_f32_e32 v50, v91, v27
	s_delay_alu instid0(VALU_DEP_1) | instskip(SKIP_1) | instid1(VALU_DEP_1)
	v_fmac_f32_e32 v50, v92, v28
	s_waitcnt lgkmcnt(0)
	v_fmac_f32_e32 v50, v93, v41
	s_delay_alu instid0(VALU_DEP_1) | instskip(NEXT) | instid1(VALU_DEP_1)
	v_fmac_f32_e32 v50, v94, v42
	v_fmac_f32_e32 v50, v95, v43
	s_delay_alu instid0(VALU_DEP_1)
	v_fmac_f32_e32 v50, v96, v24
	global_store_b32 v[48:49], v50, off
	s_waitcnt_vscnt null, 0x0
	s_barrier
	buffer_gl0_inv
	s_and_saveexec_b32 s0, vcc_lo
	s_cbranch_execz .LBB4_10
; %bb.9:
	s_lshl_b64 s[2:3], s[2:3], 3
	s_delay_alu instid0(SALU_CYCLE_1) | instskip(SKIP_2) | instid1(SALU_CYCLE_1)
	v_add_co_u32 v37, vcc_lo, v37, s2
	v_add_co_ci_u32_e32 v38, vcc_lo, s3, v38, vcc_lo
	s_lshl_b64 s[2:3], s[10:11], 3
	v_add_co_u32 v35, vcc_lo, v35, s2
	v_add_co_ci_u32_e32 v36, vcc_lo, s3, v36, vcc_lo
	global_load_b32 v23, v[37:38], off
	global_load_b32 v35, v[35:36], off
	s_waitcnt vmcnt(1)
	ds_store_b32 v39, v23
	s_waitcnt vmcnt(0)
	ds_store_b32 v0, v35
.LBB4_10:
	s_or_b32 exec_lo, exec_lo, s0
	v_add_co_u32 v17, vcc_lo, v17, s8
	v_add_co_ci_u32_e32 v18, vcc_lo, s9, v18, vcc_lo
	s_waitcnt lgkmcnt(0)
	s_barrier
	buffer_gl0_inv
	global_load_b32 v0, v[17:18], off
	s_mov_b32 s1, exec_lo
	s_waitcnt vmcnt(0)
	v_cmpx_ge_f32_e32 0x41a00000, v0
	s_cbranch_execz .LBB4_12
; %bb.11:
	v_mul_f32_e32 v17, 0x3fb8aa3b, v0
	v_cmp_ngt_f32_e32 vcc_lo, 0xc2ce8ed0, v0
	s_mov_b32 s0, 0x3e9b6dac
	s_delay_alu instid0(VALU_DEP_2) | instskip(SKIP_1) | instid1(VALU_DEP_2)
	v_rndne_f32_e32 v18, v17
	v_fma_f32 v23, 0x3fb8aa3b, v0, -v17
	v_sub_f32_e32 v17, v17, v18
	s_delay_alu instid0(VALU_DEP_2) | instskip(SKIP_1) | instid1(VALU_DEP_2)
	v_fmamk_f32 v23, v0, 0x32a5705f, v23
	v_cvt_i32_f32_e32 v18, v18
	v_add_f32_e32 v17, v17, v23
	s_delay_alu instid0(VALU_DEP_1) | instskip(SKIP_2) | instid1(VALU_DEP_1)
	v_exp_f32_e32 v17, v17
	s_waitcnt_depctr 0xfff
	v_ldexp_f32 v17, v17, v18
	v_cndmask_b32_e32 v17, 0, v17, vcc_lo
	v_cmp_nlt_f32_e32 vcc_lo, 0x42b17218, v0
	s_delay_alu instid0(VALU_DEP_2) | instskip(NEXT) | instid1(VALU_DEP_1)
	v_cndmask_b32_e32 v0, 0x7f800000, v17, vcc_lo
	v_add_f32_e32 v23, 1.0, v0
	s_delay_alu instid0(VALU_DEP_1) | instskip(NEXT) | instid1(VALU_DEP_1)
	v_cvt_f64_f32_e32 v[17:18], v23
	v_frexp_exp_i32_f64_e32 v17, v[17:18]
	v_frexp_mant_f32_e32 v18, v23
	s_delay_alu instid0(VALU_DEP_1) | instskip(SKIP_1) | instid1(VALU_DEP_1)
	v_cmp_gt_f32_e32 vcc_lo, 0x3f2aaaab, v18
	v_add_f32_e32 v18, -1.0, v23
	v_sub_f32_e32 v36, v18, v23
	s_delay_alu instid0(VALU_DEP_1) | instskip(SKIP_1) | instid1(VALU_DEP_1)
	v_add_f32_e32 v36, 1.0, v36
	v_subrev_co_ci_u32_e32 v17, vcc_lo, 0, v17, vcc_lo
	v_sub_nc_u32_e32 v35, 0, v17
	v_cvt_f32_i32_e32 v17, v17
	s_delay_alu instid0(VALU_DEP_2) | instskip(NEXT) | instid1(VALU_DEP_1)
	v_ldexp_f32 v23, v23, v35
	v_dual_add_f32 v37, 1.0, v23 :: v_dual_sub_f32 v18, v0, v18
	v_cmp_eq_f32_e32 vcc_lo, 0x7f800000, v0
	s_delay_alu instid0(VALU_DEP_2) | instskip(NEXT) | instid1(VALU_DEP_3)
	v_add_f32_e32 v18, v18, v36
	v_add_f32_e32 v36, -1.0, v37
	s_delay_alu instid0(VALU_DEP_2) | instskip(NEXT) | instid1(VALU_DEP_2)
	v_ldexp_f32 v18, v18, v35
	v_dual_add_f32 v35, -1.0, v23 :: v_dual_sub_f32 v36, v23, v36
	s_delay_alu instid0(VALU_DEP_1) | instskip(NEXT) | instid1(VALU_DEP_1)
	v_add_f32_e32 v38, 1.0, v35
	v_dual_add_f32 v36, v18, v36 :: v_dual_sub_f32 v23, v23, v38
	s_delay_alu instid0(VALU_DEP_1) | instskip(NEXT) | instid1(VALU_DEP_1)
	v_add_f32_e32 v38, v37, v36
	v_dual_add_f32 v18, v18, v23 :: v_dual_sub_f32 v37, v37, v38
	v_rcp_f32_e32 v23, v38
	s_delay_alu instid0(VALU_DEP_1) | instskip(NEXT) | instid1(VALU_DEP_1)
	v_dual_add_f32 v39, v35, v18 :: v_dual_add_f32 v36, v36, v37
	v_sub_f32_e32 v35, v35, v39
	s_waitcnt_depctr 0xfff
	v_mul_f32_e32 v44, v39, v23
	s_delay_alu instid0(VALU_DEP_1) | instskip(NEXT) | instid1(VALU_DEP_1)
	v_mul_f32_e32 v48, v38, v44
	v_fma_f32 v37, v44, v38, -v48
	s_delay_alu instid0(VALU_DEP_1) | instskip(NEXT) | instid1(VALU_DEP_1)
	v_fmac_f32_e32 v37, v44, v36
	v_add_f32_e32 v49, v48, v37
	s_delay_alu instid0(VALU_DEP_1) | instskip(NEXT) | instid1(VALU_DEP_1)
	v_sub_f32_e32 v50, v39, v49
	v_dual_sub_f32 v39, v39, v50 :: v_dual_add_f32 v18, v18, v35
	v_sub_f32_e32 v35, v49, v48
	s_delay_alu instid0(VALU_DEP_2) | instskip(NEXT) | instid1(VALU_DEP_1)
	v_sub_f32_e32 v39, v39, v49
	v_dual_sub_f32 v35, v35, v37 :: v_dual_add_f32 v18, v18, v39
	s_delay_alu instid0(VALU_DEP_1) | instskip(NEXT) | instid1(VALU_DEP_1)
	v_add_f32_e32 v18, v35, v18
	v_add_f32_e32 v35, v50, v18
	s_delay_alu instid0(VALU_DEP_1) | instskip(NEXT) | instid1(VALU_DEP_1)
	v_mul_f32_e32 v37, v23, v35
	v_mul_f32_e32 v39, v38, v37
	s_delay_alu instid0(VALU_DEP_1) | instskip(NEXT) | instid1(VALU_DEP_1)
	v_fma_f32 v38, v37, v38, -v39
	v_dual_fmac_f32 v38, v37, v36 :: v_dual_sub_f32 v49, v50, v35
	s_delay_alu instid0(VALU_DEP_1) | instskip(NEXT) | instid1(VALU_DEP_2)
	v_add_f32_e32 v36, v39, v38
	v_add_f32_e32 v18, v18, v49
	s_delay_alu instid0(VALU_DEP_2) | instskip(NEXT) | instid1(VALU_DEP_1)
	v_dual_sub_f32 v48, v35, v36 :: v_dual_sub_f32 v39, v36, v39
	v_sub_f32_e32 v35, v35, v48
	s_delay_alu instid0(VALU_DEP_1) | instskip(NEXT) | instid1(VALU_DEP_3)
	v_sub_f32_e32 v35, v35, v36
	v_sub_f32_e32 v36, v39, v38
	s_delay_alu instid0(VALU_DEP_2) | instskip(NEXT) | instid1(VALU_DEP_1)
	v_dual_add_f32 v18, v18, v35 :: v_dual_add_f32 v35, v44, v37
	v_add_f32_e32 v18, v36, v18
	s_delay_alu instid0(VALU_DEP_2) | instskip(NEXT) | instid1(VALU_DEP_2)
	v_sub_f32_e32 v36, v35, v44
	v_add_f32_e32 v18, v48, v18
	s_delay_alu instid0(VALU_DEP_2) | instskip(NEXT) | instid1(VALU_DEP_2)
	v_sub_f32_e32 v36, v37, v36
	v_mul_f32_e32 v18, v23, v18
	s_delay_alu instid0(VALU_DEP_1) | instskip(NEXT) | instid1(VALU_DEP_1)
	v_add_f32_e32 v18, v36, v18
	v_add_f32_e32 v23, v35, v18
	s_delay_alu instid0(VALU_DEP_1) | instskip(NEXT) | instid1(VALU_DEP_1)
	v_mul_f32_e32 v36, v23, v23
	v_fmaak_f32 v37, s0, v36, 0x3ecc95a3
	v_mul_f32_e32 v38, v23, v36
	v_cmp_gt_f32_e64 s0, 0x33800000, v0
	s_delay_alu instid0(VALU_DEP_3) | instskip(SKIP_2) | instid1(VALU_DEP_4)
	v_fmaak_f32 v36, v36, v37, 0x3f2aaada
	v_ldexp_f32 v37, v23, 1
	v_sub_f32_e32 v23, v23, v35
	s_or_b32 vcc_lo, s0, vcc_lo
	s_delay_alu instid0(VALU_DEP_3) | instskip(NEXT) | instid1(VALU_DEP_1)
	v_mul_f32_e32 v36, v38, v36
	v_dual_sub_f32 v18, v18, v23 :: v_dual_add_f32 v35, v37, v36
	s_delay_alu instid0(VALU_DEP_1) | instskip(NEXT) | instid1(VALU_DEP_2)
	v_ldexp_f32 v18, v18, 1
	v_sub_f32_e32 v23, v35, v37
	s_delay_alu instid0(VALU_DEP_1) | instskip(NEXT) | instid1(VALU_DEP_1)
	v_sub_f32_e32 v23, v36, v23
	v_add_f32_e32 v18, v18, v23
	s_delay_alu instid0(VALU_DEP_1) | instskip(NEXT) | instid1(VALU_DEP_1)
	v_add_f32_e32 v36, v35, v18
	v_dual_mul_f32 v38, 0x3f317218, v17 :: v_dual_sub_f32 v35, v36, v35
	s_delay_alu instid0(VALU_DEP_1) | instskip(NEXT) | instid1(VALU_DEP_1)
	v_fma_f32 v37, 0x3f317218, v17, -v38
	v_fmamk_f32 v17, v17, 0xb102e308, v37
	s_delay_alu instid0(VALU_DEP_1) | instskip(NEXT) | instid1(VALU_DEP_1)
	v_add_f32_e32 v23, v38, v17
	v_add_f32_e32 v37, v23, v36
	s_delay_alu instid0(VALU_DEP_1) | instskip(NEXT) | instid1(VALU_DEP_1)
	v_dual_sub_f32 v38, v23, v38 :: v_dual_sub_f32 v39, v37, v23
	v_sub_f32_e32 v17, v17, v38
	s_delay_alu instid0(VALU_DEP_2) | instskip(NEXT) | instid1(VALU_DEP_1)
	v_sub_f32_e32 v44, v37, v39
	v_dual_sub_f32 v23, v23, v44 :: v_dual_sub_f32 v18, v18, v35
	s_delay_alu instid0(VALU_DEP_1) | instskip(NEXT) | instid1(VALU_DEP_1)
	v_dual_sub_f32 v35, v36, v39 :: v_dual_add_f32 v36, v17, v18
	v_add_f32_e32 v23, v35, v23
	s_delay_alu instid0(VALU_DEP_2) | instskip(NEXT) | instid1(VALU_DEP_2)
	v_sub_f32_e32 v35, v36, v17
	v_add_f32_e32 v23, v36, v23
	s_delay_alu instid0(VALU_DEP_2) | instskip(NEXT) | instid1(VALU_DEP_2)
	v_sub_f32_e32 v36, v36, v35
	v_add_f32_e32 v38, v37, v23
	s_delay_alu instid0(VALU_DEP_2) | instskip(NEXT) | instid1(VALU_DEP_2)
	v_dual_sub_f32 v17, v17, v36 :: v_dual_sub_f32 v18, v18, v35
	v_sub_f32_e32 v35, v38, v37
	s_delay_alu instid0(VALU_DEP_1) | instskip(NEXT) | instid1(VALU_DEP_1)
	v_dual_add_f32 v17, v18, v17 :: v_dual_sub_f32 v18, v23, v35
	v_add_f32_e32 v17, v17, v18
	s_delay_alu instid0(VALU_DEP_1) | instskip(NEXT) | instid1(VALU_DEP_1)
	v_add_f32_e32 v17, v38, v17
	v_cndmask_b32_e32 v0, v17, v0, vcc_lo
.LBB4_12:
	s_or_b32 exec_lo, exec_lo, s1
	v_add_co_u32 v17, vcc_lo, v19, s6
	v_add_co_ci_u32_e32 v18, vcc_lo, s7, v20, vcc_lo
	s_delay_alu instid0(VALU_DEP_3)
	v_dual_mul_f32 v39, v0, v13 :: v_dual_mov_b32 v44, 0
	v_mul_f32_e32 v56, v0, v14
	global_load_b32 v23, v[17:18], off
	s_add_u32 s0, s30, s20
	v_mul_f32_e32 v71, 0x3fb8aa3b, v39
	v_dual_mul_f32 v57, v0, v15 :: v_dual_mul_f32 v72, 0x3fb8aa3b, v56
	v_mul_f32_e32 v58, v0, v16
	v_cmp_ngt_f32_e32 vcc_lo, 0xc2ce8ed0, v39
	s_delay_alu instid0(VALU_DEP_4) | instskip(NEXT) | instid1(VALU_DEP_4)
	v_rndne_f32_e32 v87, v71
	v_mul_f32_e32 v73, 0x3fb8aa3b, v57
	s_delay_alu instid0(VALU_DEP_4)
	v_dual_mul_f32 v59, v0, v9 :: v_dual_mul_f32 v74, 0x3fb8aa3b, v58
	v_mul_f32_e32 v60, v0, v10
	v_mul_f32_e32 v70, v0, v4
	v_fma_f32 v86, 0x3fb8aa3b, v39, -v71
	v_sub_f32_e32 v71, v71, v87
	v_mul_f32_e32 v75, 0x3fb8aa3b, v59
	v_dual_mul_f32 v61, v0, v11 :: v_dual_mul_f32 v76, 0x3fb8aa3b, v60
	v_mul_f32_e32 v62, v0, v12
	v_fma_f32 v88, 0x3fb8aa3b, v56, -v72
	s_delay_alu instid0(VALU_DEP_4) | instskip(NEXT) | instid1(VALU_DEP_4)
	v_fma_f32 v94, 0x3fb8aa3b, v59, -v75
	v_mul_f32_e32 v77, 0x3fb8aa3b, v61
	s_delay_alu instid0(VALU_DEP_4) | instskip(SKIP_3) | instid1(VALU_DEP_4)
	v_dual_mul_f32 v63, v0, v5 :: v_dual_mul_f32 v78, 0x3fb8aa3b, v62
	v_mul_f32_e32 v64, v0, v6
	v_rndne_f32_e32 v89, v72
	v_cvt_i32_f32_e32 v87, v87
	v_mul_f32_e32 v79, 0x3fb8aa3b, v63
	s_delay_alu instid0(VALU_DEP_4) | instskip(SKIP_3) | instid1(VALU_DEP_4)
	v_dual_mul_f32 v65, v0, v7 :: v_dual_mul_f32 v80, 0x3fb8aa3b, v64
	v_mul_f32_e32 v66, v0, v8
	v_fma_f32 v90, 0x3fb8aa3b, v57, -v73
	v_rndne_f32_e32 v91, v73
	v_mul_f32_e32 v81, 0x3fb8aa3b, v65
	s_delay_alu instid0(VALU_DEP_4) | instskip(SKIP_3) | instid1(VALU_DEP_4)
	v_dual_mul_f32 v67, v0, v1 :: v_dual_mul_f32 v82, 0x3fb8aa3b, v66
	v_mul_f32_e32 v68, v0, v2
	v_mul_f32_e32 v85, 0x3fb8aa3b, v70
	v_rndne_f32_e32 v95, v75
	v_mul_f32_e32 v83, 0x3fb8aa3b, v67
	v_mul_f32_e32 v69, v0, v3
	ds_load_b128 v[1:4], v44
	ds_load_b128 v[5:8], v44 offset:16
	ds_load_b128 v[9:12], v44 offset:32
	;; [unrolled: 1-line block ×7, first 2 shown]
	v_mul_f32_e32 v44, 0x3fb8aa3b, v68
	v_mul_f32_e32 v84, 0x3fb8aa3b, v69
	v_rndne_f32_e32 v117, v85
	v_fmac_f32_e32 v86, 0x32a5705f, v39
	v_fma_f32 v116, 0x3fb8aa3b, v70, -v85
	v_fma_f32 v106, 0x3fb8aa3b, v65, -v81
	v_dual_fmac_f32 v88, 0x32a5705f, v56 :: v_dual_sub_f32 v73, v73, v91
	v_dual_sub_f32 v85, v85, v117 :: v_dual_fmac_f32 v94, 0x32a5705f, v59
	v_dual_add_f32 v71, v71, v86 :: v_dual_sub_f32 v72, v72, v89
	v_sub_f32_e32 v75, v75, v95
	v_rndne_f32_e32 v97, v76
	v_rndne_f32_e32 v99, v77
	s_delay_alu instid0(VALU_DEP_4)
	v_exp_f32_e32 v71, v71
	v_fmac_f32_e32 v90, 0x32a5705f, v57
	v_fma_f32 v92, 0x3fb8aa3b, v58, -v74
	v_rndne_f32_e32 v93, v74
	v_fma_f32 v96, 0x3fb8aa3b, v60, -v76
	v_fma_f32 v98, 0x3fb8aa3b, v61, -v77
	v_dual_sub_f32 v77, v77, v99 :: v_dual_sub_f32 v76, v76, v97
	v_add_f32_e32 v73, v73, v90
	v_rndne_f32_e32 v103, v79
	s_delay_alu instid0(TRANS32_DEP_1)
	v_ldexp_f32 v71, v71, v87
	v_fmac_f32_e32 v106, 0x32a5705f, v65
	v_rndne_f32_e32 v107, v81
	v_fma_f32 v114, 0x3fb8aa3b, v69, -v84
	v_cvt_i32_f32_e32 v89, v89
	v_dual_cndmask_b32 v71, 0, v71 :: v_dual_add_f32 v72, v72, v88
	v_fmac_f32_e32 v92, 0x32a5705f, v58
	v_dual_sub_f32 v74, v74, v93 :: v_dual_sub_f32 v81, v81, v107
	v_exp_f32_e32 v73, v73
	s_delay_alu instid0(VALU_DEP_3)
	v_exp_f32_e32 v72, v72
	v_fma_f32 v102, 0x3fb8aa3b, v63, -v79
	v_cvt_i32_f32_e32 v91, v91
	v_dual_sub_f32 v79, v79, v103 :: v_dual_fmac_f32 v114, 0x32a5705f, v69
	v_cmp_ngt_f32_e32 vcc_lo, 0xc2ce8ed0, v56
	v_fma_f32 v108, 0x3fb8aa3b, v66, -v82
	v_rndne_f32_e32 v111, v83
	v_fmac_f32_e32 v96, 0x32a5705f, v60
	v_dual_fmac_f32 v98, 0x32a5705f, v61 :: v_dual_add_f32 v75, v75, v94
	s_delay_alu instid0(TRANS32_DEP_1)
	v_ldexp_f32 v72, v72, v89
	v_ldexp_f32 v73, v73, v91
	v_rndne_f32_e32 v101, v78
	v_fma_f32 v110, 0x3fb8aa3b, v67, -v83
	v_cvt_i32_f32_e32 v93, v93
	v_cndmask_b32_e32 v72, 0, v72, vcc_lo
	v_cmp_ngt_f32_e32 vcc_lo, 0xc2ce8ed0, v57
	v_dual_fmac_f32 v108, 0x32a5705f, v66 :: v_dual_sub_f32 v83, v83, v111
	v_exp_f32_e32 v75, v75
	v_fma_f32 v100, 0x3fb8aa3b, v62, -v78
	v_dual_cndmask_b32 v73, 0, v73 :: v_dual_add_f32 v76, v76, v96
	v_cvt_i32_f32_e32 v95, v95
	v_dual_sub_f32 v78, v78, v101 :: v_dual_add_f32 v77, v77, v98
	v_cmp_ngt_f32_e32 vcc_lo, 0xc2ce8ed0, v58
	s_delay_alu instid0(VALU_DEP_4)
	v_exp_f32_e32 v76, v76
	v_rndne_f32_e32 v109, v82
	v_cvt_i32_f32_e32 v97, v97
	v_exp_f32_e32 v77, v77
	v_ldexp_f32 v75, v75, v95
	v_cvt_i32_f32_e32 v99, v99
	v_fmac_f32_e32 v116, 0x32a5705f, v70
	v_fmac_f32_e32 v100, 0x32a5705f, v62
	v_fma_f32 v104, 0x3fb8aa3b, v64, -v80
	v_rndne_f32_e32 v105, v80
	v_ldexp_f32 v76, v76, v97
	v_dual_add_f32 v85, v85, v116 :: v_dual_fmac_f32 v102, 0x32a5705f, v63
	v_add_f32_e32 v81, v81, v106
	v_ldexp_f32 v77, v77, v99
	v_fmac_f32_e32 v104, 0x32a5705f, v64
	v_cvt_i32_f32_e32 v101, v101
	v_add_f32_e32 v79, v79, v102
	v_cvt_i32_f32_e32 v103, v103
	v_fma_f32 v112, 0x3fb8aa3b, v68, -v44
	v_exp_f32_e32 v81, v81
	v_cvt_i32_f32_e32 v107, v107
	v_exp_f32_e32 v79, v79
	v_rndne_f32_e32 v115, v84
	v_rndne_f32_e32 v113, v44
	v_cvt_i32_f32_e32 v111, v111
	v_exp_f32_e32 v85, v85
	v_cvt_i32_f32_e32 v117, v117
	s_mul_i32 s1, s14, s5
	s_addc_u32 s2, s31, s21
	v_ldexp_f32 v81, v81, v107
	s_add_u32 s0, s0, s1
	v_ldexp_f32 v79, v79, v103
	s_addc_u32 s1, s2, 0
	s_ashr_i64 s[2:3], s[12:13], 29
	s_add_u32 s0, s0, s29
	s_waitcnt_depctr 0xfff
	v_ldexp_f32 v85, v85, v117
	s_addc_u32 s1, s1, s28
	s_waitcnt vmcnt(0)
	v_dual_mul_f32 v23, v0, v23 :: v_dual_add_f32 v74, v74, v92
	s_waitcnt lgkmcnt(7)
	s_delay_alu instid0(VALU_DEP_1) | instskip(SKIP_1) | instid1(VALU_DEP_3)
	v_mul_f32_e32 v0, v23, v1
	v_mul_f32_e32 v1, v23, v2
	v_exp_f32_e32 v74, v74
	v_mul_f32_e32 v2, v23, v3
	v_mul_f32_e32 v3, v23, v4
	s_waitcnt lgkmcnt(6)
	v_mul_f32_e32 v4, v23, v5
	v_mul_f32_e32 v5, v23, v6
	;; [unrolled: 1-line block ×4, first 2 shown]
	s_waitcnt lgkmcnt(5)
	v_mul_f32_e32 v8, v23, v9
	v_mul_f32_e32 v9, v23, v10
	;; [unrolled: 1-line block ×3, first 2 shown]
	v_ldexp_f32 v74, v74, v93
	v_mul_f32_e32 v11, v23, v12
	s_waitcnt lgkmcnt(4)
	v_mul_f32_e32 v12, v23, v13
	v_mul_f32_e32 v13, v23, v14
	v_mul_f32_e32 v14, v23, v15
	v_cndmask_b32_e32 v74, 0, v74, vcc_lo
	v_cmp_ngt_f32_e32 vcc_lo, 0xc2ce8ed0, v59
	v_sub_f32_e32 v82, v82, v109
	v_add_f32_e32 v78, v78, v100
	v_cvt_i32_f32_e32 v109, v109
	v_mul_f32_e32 v15, v23, v16
	v_cndmask_b32_e32 v75, 0, v75, vcc_lo
	v_cmp_ngt_f32_e32 vcc_lo, 0xc2ce8ed0, v60
	v_exp_f32_e32 v78, v78
	v_add_f32_e32 v82, v82, v108
	v_cndmask_b32_e32 v76, 0, v76, vcc_lo
	v_cmp_ngt_f32_e32 vcc_lo, 0xc2ce8ed0, v61
	v_fmac_f32_e32 v110, 0x32a5705f, v67
	s_delay_alu instid0(VALU_DEP_4) | instskip(SKIP_1) | instid1(VALU_DEP_2)
	v_exp_f32_e32 v82, v82
	v_cndmask_b32_e32 v77, 0, v77, vcc_lo
	v_dual_sub_f32 v80, v80, v105 :: v_dual_add_f32 v83, v83, v110
	s_delay_alu instid0(TRANS32_DEP_2) | instskip(SKIP_2) | instid1(VALU_DEP_4)
	v_ldexp_f32 v78, v78, v101
	v_cmp_ngt_f32_e32 vcc_lo, 0xc2ce8ed0, v62
	v_cvt_i32_f32_e32 v105, v105
	v_add_f32_e32 v80, v80, v104
	v_exp_f32_e32 v83, v83
	s_delay_alu instid0(TRANS32_DEP_2)
	v_ldexp_f32 v82, v82, v109
	v_cndmask_b32_e32 v78, 0, v78, vcc_lo
	v_cmp_ngt_f32_e32 vcc_lo, 0xc2ce8ed0, v63
	v_exp_f32_e32 v80, v80
	v_dual_fmac_f32 v112, 0x32a5705f, v68 :: v_dual_cndmask_b32 v79, 0, v79
	v_cmp_ngt_f32_e32 vcc_lo, 0xc2ce8ed0, v64
	s_delay_alu instid0(TRANS32_DEP_2) | instskip(SKIP_2) | instid1(VALU_DEP_1)
	v_ldexp_f32 v83, v83, v111
	s_waitcnt_depctr 0xfff
	v_ldexp_f32 v80, v80, v105
	v_cndmask_b32_e32 v80, 0, v80, vcc_lo
	v_cmp_ngt_f32_e32 vcc_lo, 0xc2ce8ed0, v65
	v_sub_f32_e32 v84, v84, v115
	v_cvt_i32_f32_e32 v115, v115
	v_cndmask_b32_e32 v81, 0, v81, vcc_lo
	v_cmp_ngt_f32_e32 vcc_lo, 0xc2ce8ed0, v66
	s_delay_alu instid0(VALU_DEP_4)
	v_add_f32_e32 v84, v84, v114
	v_cndmask_b32_e32 v82, 0, v82, vcc_lo
	v_cmp_ngt_f32_e32 vcc_lo, 0xc2ce8ed0, v67
	v_sub_f32_e32 v44, v44, v113
	v_cvt_i32_f32_e32 v113, v113
	v_exp_f32_e32 v84, v84
	s_delay_alu instid0(VALU_DEP_2) | instskip(SKIP_1) | instid1(VALU_DEP_2)
	v_dual_cndmask_b32 v83, 0, v83 :: v_dual_add_f32 v44, v44, v112
	v_cmp_ngt_f32_e32 vcc_lo, 0xc2ce8ed0, v68
	v_exp_f32_e32 v44, v44
	s_waitcnt_depctr 0xfff
	v_ldexp_f32 v84, v84, v115
	v_ldexp_f32 v44, v44, v113
	s_delay_alu instid0(VALU_DEP_1) | instskip(SKIP_1) | instid1(VALU_DEP_4)
	v_cndmask_b32_e32 v44, 0, v44, vcc_lo
	v_cmp_ngt_f32_e32 vcc_lo, 0xc2ce8ed0, v69
	v_cndmask_b32_e32 v84, 0, v84, vcc_lo
	v_cmp_nlt_f32_e32 vcc_lo, 0x42b17218, v39
	v_cndmask_b32_e32 v39, 0x7f800000, v71, vcc_lo
	v_cmp_ngt_f32_e32 vcc_lo, 0xc2ce8ed0, v70
	s_delay_alu instid0(VALU_DEP_2) | instskip(SKIP_2) | instid1(VALU_DEP_2)
	v_dual_fmac_f32 v0, v46, v39 :: v_dual_cndmask_b32 v71, 0, v85
	v_cmp_nlt_f32_e32 vcc_lo, 0x42b17218, v56
	s_waitcnt lgkmcnt(3)
	v_fma_f32 v46, v17, v0, 0
	v_cndmask_b32_e32 v56, 0x7f800000, v72, vcc_lo
	v_cmp_nlt_f32_e32 vcc_lo, 0x42b17218, v57
	s_delay_alu instid0(VALU_DEP_2) | instskip(SKIP_2) | instid1(VALU_DEP_3)
	v_fmac_f32_e32 v1, v47, v56
	v_cndmask_b32_e32 v39, 0x7f800000, v73, vcc_lo
	v_cmp_nlt_f32_e32 vcc_lo, 0x42b17218, v58
	v_dual_fmac_f32 v46, v18, v1 :: v_dual_cndmask_b32 v17, 0x7f800000, v74
	v_cmp_nlt_f32_e32 vcc_lo, 0x42b17218, v59
	s_delay_alu instid0(VALU_DEP_2) | instskip(SKIP_1) | instid1(VALU_DEP_2)
	v_dual_fmac_f32 v3, v45, v17 :: v_dual_cndmask_b32 v18, 0x7f800000, v75
	v_cmp_nlt_f32_e32 vcc_lo, 0x42b17218, v60
	v_dual_fmac_f32 v4, v29, v18 :: v_dual_cndmask_b32 v17, 0x7f800000, v76
	v_cmp_nlt_f32_e32 vcc_lo, 0x42b17218, v61
	s_delay_alu instid0(VALU_DEP_2) | instskip(SKIP_2) | instid1(VALU_DEP_2)
	v_fmac_f32_e32 v5, v30, v17
	v_cndmask_b32_e32 v18, 0x7f800000, v77, vcc_lo
	v_cmp_nlt_f32_e32 vcc_lo, 0x42b17218, v62
	v_fmac_f32_e32 v6, v31, v18
	v_cndmask_b32_e32 v17, 0x7f800000, v78, vcc_lo
	v_cmp_nlt_f32_e32 vcc_lo, 0x42b17218, v63
	s_delay_alu instid0(VALU_DEP_2) | instskip(SKIP_1) | instid1(VALU_DEP_2)
	v_dual_fmac_f32 v7, v32, v17 :: v_dual_cndmask_b32 v18, 0x7f800000, v79
	v_cmp_nlt_f32_e32 vcc_lo, 0x42b17218, v64
	v_dual_fmac_f32 v8, v25, v18 :: v_dual_cndmask_b32 v17, 0x7f800000, v80
	v_cmp_nlt_f32_e32 vcc_lo, 0x42b17218, v65
	s_delay_alu instid0(VALU_DEP_2) | instskip(SKIP_3) | instid1(VALU_DEP_3)
	v_fmac_f32_e32 v9, v26, v17
	v_cndmask_b32_e32 v18, 0x7f800000, v81, vcc_lo
	v_cmp_nlt_f32_e32 vcc_lo, 0x42b17218, v66
	v_fmac_f32_e32 v2, v40, v39
	v_fmac_f32_e32 v10, v27, v18
	v_cndmask_b32_e32 v17, 0x7f800000, v82, vcc_lo
	v_cmp_nlt_f32_e32 vcc_lo, 0x42b17218, v67
	s_delay_alu instid0(VALU_DEP_2) | instskip(SKIP_1) | instid1(VALU_DEP_2)
	v_dual_fmac_f32 v11, v28, v17 :: v_dual_cndmask_b32 v18, 0x7f800000, v83
	v_cmp_nlt_f32_e32 vcc_lo, 0x42b17218, v68
	v_dual_fmac_f32 v12, v41, v18 :: v_dual_cndmask_b32 v17, 0x7f800000, v44
	v_cmp_nlt_f32_e32 vcc_lo, 0x42b17218, v69
	s_delay_alu instid0(VALU_DEP_2) | instskip(SKIP_1) | instid1(VALU_DEP_2)
	v_dual_fmac_f32 v13, v42, v17 :: v_dual_cndmask_b32 v18, 0x7f800000, v84
	v_cmp_nlt_f32_e32 vcc_lo, 0x42b17218, v70
	v_dual_fmac_f32 v14, v43, v18 :: v_dual_cndmask_b32 v17, 0x7f800000, v71
	v_fmac_f32_e32 v46, v19, v2
	v_add_co_u32 v16, vcc_lo, v21, s2
	s_delay_alu instid0(VALU_DEP_3) | instskip(NEXT) | instid1(VALU_DEP_3)
	v_fmac_f32_e32 v15, v24, v17
	v_fmac_f32_e32 v46, v20, v3
	v_add_co_ci_u32_e32 v17, vcc_lo, s3, v22, vcc_lo
	v_add_co_u32 v18, vcc_lo, s0, v33
	s_waitcnt lgkmcnt(2)
	s_delay_alu instid0(VALU_DEP_3) | instskip(SKIP_1) | instid1(VALU_DEP_2)
	v_fmac_f32_e32 v46, v35, v4
	v_add_co_ci_u32_e32 v19, vcc_lo, s1, v34, vcc_lo
	v_fmac_f32_e32 v46, v36, v5
	s_delay_alu instid0(VALU_DEP_1) | instskip(NEXT) | instid1(VALU_DEP_1)
	v_fmac_f32_e32 v46, v37, v6
	v_fmac_f32_e32 v46, v38, v7
	s_waitcnt lgkmcnt(1)
	s_delay_alu instid0(VALU_DEP_1) | instskip(NEXT) | instid1(VALU_DEP_1)
	v_fmac_f32_e32 v46, v48, v8
	v_fmac_f32_e32 v46, v49, v9
	s_delay_alu instid0(VALU_DEP_1) | instskip(NEXT) | instid1(VALU_DEP_1)
	v_fmac_f32_e32 v46, v50, v10
	v_fmac_f32_e32 v46, v51, v11
	s_waitcnt lgkmcnt(0)
	s_delay_alu instid0(VALU_DEP_1) | instskip(NEXT) | instid1(VALU_DEP_1)
	v_fmac_f32_e32 v46, v52, v12
	v_fmac_f32_e32 v46, v53, v13
	s_delay_alu instid0(VALU_DEP_1) | instskip(NEXT) | instid1(VALU_DEP_1)
	v_fmac_f32_e32 v46, v54, v14
	v_fmac_f32_e32 v46, v55, v15
	global_store_b32 v[16:17], v46, off
	s_waitcnt_vscnt null, 0x0
	s_barrier
	buffer_gl0_inv
	s_clause 0x3
	global_store_b128 v[18:19], v[0:3], off
	global_store_b128 v[18:19], v[4:7], off offset:16
	global_store_b128 v[18:19], v[8:11], off offset:32
	;; [unrolled: 1-line block ×3, first 2 shown]
	s_nop 0
	s_sendmsg sendmsg(MSG_DEALLOC_VGPRS)
	s_endpgm
	.section	.rodata,"a",@progbits
	.p2align	6, 0x0
	.amdhsa_kernel _Z12ssm_scan_f32ILm128ELm16ELm3EEvPKfS1_S1_S1_S1_S1_PKiPfiiiiiiiiiiilll
		.amdhsa_group_segment_fixed_size 128
		.amdhsa_private_segment_fixed_size 0
		.amdhsa_kernarg_size 136
		.amdhsa_user_sgpr_count 14
		.amdhsa_user_sgpr_dispatch_ptr 0
		.amdhsa_user_sgpr_queue_ptr 0
		.amdhsa_user_sgpr_kernarg_segment_ptr 1
		.amdhsa_user_sgpr_dispatch_id 0
		.amdhsa_user_sgpr_private_segment_size 0
		.amdhsa_wavefront_size32 1
		.amdhsa_uses_dynamic_stack 0
		.amdhsa_enable_private_segment 0
		.amdhsa_system_sgpr_workgroup_id_x 1
		.amdhsa_system_sgpr_workgroup_id_y 1
		.amdhsa_system_sgpr_workgroup_id_z 0
		.amdhsa_system_sgpr_workgroup_info 0
		.amdhsa_system_vgpr_workitem_id 0
		.amdhsa_next_free_vgpr 144
		.amdhsa_next_free_sgpr 40
		.amdhsa_reserve_vcc 1
		.amdhsa_float_round_mode_32 0
		.amdhsa_float_round_mode_16_64 0
		.amdhsa_float_denorm_mode_32 3
		.amdhsa_float_denorm_mode_16_64 3
		.amdhsa_dx10_clamp 1
		.amdhsa_ieee_mode 1
		.amdhsa_fp16_overflow 0
		.amdhsa_workgroup_processor_mode 1
		.amdhsa_memory_ordered 1
		.amdhsa_forward_progress 0
		.amdhsa_shared_vgpr_count 0
		.amdhsa_exception_fp_ieee_invalid_op 0
		.amdhsa_exception_fp_denorm_src 0
		.amdhsa_exception_fp_ieee_div_zero 0
		.amdhsa_exception_fp_ieee_overflow 0
		.amdhsa_exception_fp_ieee_underflow 0
		.amdhsa_exception_fp_ieee_inexact 0
		.amdhsa_exception_int_div_zero 0
	.end_amdhsa_kernel
	.section	.text._Z12ssm_scan_f32ILm128ELm16ELm3EEvPKfS1_S1_S1_S1_S1_PKiPfiiiiiiiiiiilll,"axG",@progbits,_Z12ssm_scan_f32ILm128ELm16ELm3EEvPKfS1_S1_S1_S1_S1_PKiPfiiiiiiiiiiilll,comdat
.Lfunc_end4:
	.size	_Z12ssm_scan_f32ILm128ELm16ELm3EEvPKfS1_S1_S1_S1_S1_PKiPfiiiiiiiiiiilll, .Lfunc_end4-_Z12ssm_scan_f32ILm128ELm16ELm3EEvPKfS1_S1_S1_S1_S1_PKiPfiiiiiiiiiiilll
                                        ; -- End function
	.section	.AMDGPU.csdata,"",@progbits
; Kernel info:
; codeLenInByte = 9628
; NumSgprs: 42
; NumVgprs: 144
; ScratchSize: 0
; MemoryBound: 0
; FloatMode: 240
; IeeeMode: 1
; LDSByteSize: 128 bytes/workgroup (compile time only)
; SGPRBlocks: 5
; VGPRBlocks: 17
; NumSGPRsForWavesPerEU: 42
; NumVGPRsForWavesPerEU: 144
; Occupancy: 10
; WaveLimiterHint : 1
; COMPUTE_PGM_RSRC2:SCRATCH_EN: 0
; COMPUTE_PGM_RSRC2:USER_SGPR: 14
; COMPUTE_PGM_RSRC2:TRAP_HANDLER: 0
; COMPUTE_PGM_RSRC2:TGID_X_EN: 1
; COMPUTE_PGM_RSRC2:TGID_Y_EN: 1
; COMPUTE_PGM_RSRC2:TGID_Z_EN: 0
; COMPUTE_PGM_RSRC2:TIDIG_COMP_CNT: 0
	.section	.text._Z12ssm_scan_f32ILm128ELm16ELm4EEvPKfS1_S1_S1_S1_S1_PKiPfiiiiiiiiiiilll,"axG",@progbits,_Z12ssm_scan_f32ILm128ELm16ELm4EEvPKfS1_S1_S1_S1_S1_PKiPfiiiiiiiiiiilll,comdat
	.protected	_Z12ssm_scan_f32ILm128ELm16ELm4EEvPKfS1_S1_S1_S1_S1_PKiPfiiiiiiiiiiilll ; -- Begin function _Z12ssm_scan_f32ILm128ELm16ELm4EEvPKfS1_S1_S1_S1_S1_PKiPfiiiiiiiiiiilll
	.globl	_Z12ssm_scan_f32ILm128ELm16ELm4EEvPKfS1_S1_S1_S1_S1_PKiPfiiiiiiiiiiilll
	.p2align	8
	.type	_Z12ssm_scan_f32ILm128ELm16ELm4EEvPKfS1_S1_S1_S1_S1_PKiPfiiiiiiiiiiilll,@function
_Z12ssm_scan_f32ILm128ELm16ELm4EEvPKfS1_S1_S1_S1_S1_PKiPfiiiiiiiiiiilll: ; @_Z12ssm_scan_f32ILm128ELm16ELm4EEvPKfS1_S1_S1_S1_S1_PKiPfiiiiiiiiiiilll
; %bb.0:
	s_load_b512 s[36:51], s[0:1], 0x0
	s_mov_b32 s2, s15
	s_mov_b32 s15, 0
	v_dual_mov_b32 v2, 0 :: v_dual_lshlrev_b32 v39, 2, v0
	s_lshl_b64 s[4:5], s[14:15], 2
	s_waitcnt lgkmcnt(0)
	s_add_u32 s4, s48, s4
	s_addc_u32 s5, s49, s5
	s_load_b256 s[52:59], s[0:1], 0x40
	s_load_b32 s3, s[4:5], 0x0
	s_waitcnt lgkmcnt(0)
	s_mul_i32 s3, s3, s53
	s_delay_alu instid0(SALU_CYCLE_1)
	s_ashr_i32 s4, s3, 31
	s_add_u32 s3, s36, s3
	s_addc_u32 s4, s37, s4
	s_lshl_b32 s5, s2, 7
	s_ashr_i32 s6, s52, 31
	s_lshr_b32 s7, s2, 25
	s_mul_i32 s6, s5, s6
	s_mul_hi_u32 s8, s5, s52
	s_mul_i32 s9, s7, s52
	s_add_i32 s6, s8, s6
	s_mul_i32 s60, s5, s52
	s_add_i32 s61, s6, s9
	s_add_u32 s3, s3, s60
	s_addc_u32 s4, s4, s61
	s_ashr_i32 s6, s58, 31
	s_mul_hi_u32 s8, s5, s58
	s_mul_i32 s6, s5, s6
	s_mul_i32 s7, s7, s58
	s_add_i32 s6, s8, s6
	s_mul_i32 s5, s5, s58
	s_add_i32 s6, s6, s7
	s_add_u32 s5, s42, s5
	s_addc_u32 s6, s43, s6
	s_ashr_i32 s7, s58, 2
	s_delay_alu instid0(SALU_CYCLE_1) | instskip(SKIP_1) | instid1(VALU_DEP_1)
	v_mul_lo_u32 v1, s7, v0
	s_ashr_i32 s7, s52, 2
	v_lshlrev_b64 v[3:4], 2, v[1:2]
	v_mul_lo_u32 v1, s7, v0
	s_delay_alu instid0(VALU_DEP_2) | instskip(NEXT) | instid1(VALU_DEP_3)
	v_add_co_u32 v13, vcc_lo, s5, v3
	v_add_co_ci_u32_e32 v14, vcc_lo, s6, v4, vcc_lo
	s_delay_alu instid0(VALU_DEP_3) | instskip(NEXT) | instid1(VALU_DEP_1)
	v_lshlrev_b64 v[33:34], 2, v[1:2]
	v_add_co_u32 v29, vcc_lo, s3, v33
	s_delay_alu instid0(VALU_DEP_2)
	v_add_co_ci_u32_e32 v30, vcc_lo, s4, v34, vcc_lo
	s_clause 0x3
	global_load_b128 v[1:4], v[13:14], off offset:48
	global_load_b128 v[5:8], v[13:14], off offset:32
	;; [unrolled: 1-line block ×3, first 2 shown]
	global_load_b128 v[13:16], v[13:14], off
	s_clause 0x3
	global_load_b128 v[17:20], v[29:30], off offset:48
	global_load_b128 v[21:24], v[29:30], off offset:32
	;; [unrolled: 1-line block ×3, first 2 shown]
	global_load_b128 v[29:32], v[29:30], off
	s_load_b128 s[4:7], s[0:1], 0x60
	v_cmp_gt_u32_e32 vcc_lo, 16, v0
	v_add_nc_u32_e32 v0, 64, v39
	s_waitcnt lgkmcnt(0)
	s_mul_i32 s3, s14, s4
	s_mul_i32 s4, s14, s6
	s_add_u32 s3, s44, s3
	s_addc_u32 s6, s45, 0
	s_add_u32 s4, s46, s4
	v_add_co_u32 v35, s3, s3, v39
	s_addc_u32 s7, s47, 0
	v_add_co_ci_u32_e64 v36, null, s6, 0, s3
	v_add_co_u32 v37, s3, s4, v39
	s_delay_alu instid0(VALU_DEP_1)
	v_add_co_ci_u32_e64 v38, null, s7, 0, s3
	s_mov_b32 s3, s15
	s_and_saveexec_b32 s4, vcc_lo
	s_cbranch_execz .LBB5_2
; %bb.1:
	global_load_b32 v40, v[35:36], off
	global_load_b32 v41, v[37:38], off
	s_waitcnt vmcnt(1)
	ds_store_b32 v39, v40
	s_waitcnt vmcnt(0)
	ds_store_b32 v0, v41
.LBB5_2:
	s_or_b32 exec_lo, exec_lo, s4
	s_mul_i32 s4, s14, s57
	s_lshl_b64 s[6:7], s[2:3], 9
	s_add_u32 s2, s40, s4
	s_addc_u32 s3, s41, 0
	s_add_u32 s2, s2, s6
	s_addc_u32 s3, s3, s7
	s_waitcnt vmcnt(0) lgkmcnt(0)
	s_barrier
	buffer_gl0_inv
	global_load_b32 v42, v39, s[2:3]
	v_add_co_u32 v40, s2, s2, v39
	s_delay_alu instid0(VALU_DEP_1)
	v_add_co_ci_u32_e64 v41, null, s3, 0, s2
	s_mov_b32 s4, exec_lo
	s_waitcnt vmcnt(0)
	v_cmpx_ge_f32_e32 0x41a00000, v42
	s_cbranch_execz .LBB5_4
; %bb.3:
	v_mul_f32_e32 v43, 0x3fb8aa3b, v42
	v_cmp_ngt_f32_e64 s2, 0xc2ce8ed0, v42
	s_delay_alu instid0(VALU_DEP_2) | instskip(SKIP_1) | instid1(VALU_DEP_2)
	v_rndne_f32_e32 v44, v43
	v_fma_f32 v45, 0x3fb8aa3b, v42, -v43
	v_sub_f32_e32 v43, v43, v44
	s_delay_alu instid0(VALU_DEP_2) | instskip(SKIP_1) | instid1(VALU_DEP_2)
	v_fmamk_f32 v45, v42, 0x32a5705f, v45
	v_cvt_i32_f32_e32 v44, v44
	v_add_f32_e32 v43, v43, v45
	s_delay_alu instid0(VALU_DEP_1) | instskip(SKIP_2) | instid1(VALU_DEP_1)
	v_exp_f32_e32 v43, v43
	s_waitcnt_depctr 0xfff
	v_ldexp_f32 v43, v43, v44
	v_cndmask_b32_e64 v43, 0, v43, s2
	v_cmp_nlt_f32_e64 s2, 0x42b17218, v42
	s_delay_alu instid0(VALU_DEP_1) | instskip(NEXT) | instid1(VALU_DEP_1)
	v_cndmask_b32_e64 v44, 0x7f800000, v43, s2
	v_add_f32_e32 v45, 1.0, v44
	v_cmp_gt_f32_e64 s3, 0x33800000, v44
	s_delay_alu instid0(VALU_DEP_2) | instskip(NEXT) | instid1(VALU_DEP_1)
	v_cvt_f64_f32_e32 v[42:43], v45
	v_frexp_exp_i32_f64_e32 v42, v[42:43]
	v_frexp_mant_f32_e32 v43, v45
	s_delay_alu instid0(VALU_DEP_1) | instskip(SKIP_1) | instid1(VALU_DEP_1)
	v_cmp_gt_f32_e64 s2, 0x3f2aaaab, v43
	v_add_f32_e32 v43, -1.0, v45
	v_sub_f32_e32 v47, v43, v45
	v_sub_f32_e32 v43, v44, v43
	s_delay_alu instid0(VALU_DEP_2) | instskip(NEXT) | instid1(VALU_DEP_1)
	v_add_f32_e32 v47, 1.0, v47
	v_add_f32_e32 v43, v43, v47
	v_subrev_co_ci_u32_e64 v42, s2, 0, v42, s2
	s_mov_b32 s2, 0x3e9b6dac
	s_delay_alu instid0(VALU_DEP_1) | instskip(SKIP_1) | instid1(VALU_DEP_2)
	v_sub_nc_u32_e32 v46, 0, v42
	v_cvt_f32_i32_e32 v42, v42
	v_ldexp_f32 v45, v45, v46
	v_ldexp_f32 v43, v43, v46
	s_delay_alu instid0(VALU_DEP_2) | instskip(NEXT) | instid1(VALU_DEP_1)
	v_add_f32_e32 v48, 1.0, v45
	v_dual_add_f32 v46, -1.0, v45 :: v_dual_add_f32 v47, -1.0, v48
	s_delay_alu instid0(VALU_DEP_1) | instskip(NEXT) | instid1(VALU_DEP_2)
	v_add_f32_e32 v49, 1.0, v46
	v_sub_f32_e32 v47, v45, v47
	s_delay_alu instid0(VALU_DEP_2) | instskip(NEXT) | instid1(VALU_DEP_2)
	v_sub_f32_e32 v45, v45, v49
	v_add_f32_e32 v47, v43, v47
	s_delay_alu instid0(VALU_DEP_1) | instskip(NEXT) | instid1(VALU_DEP_3)
	v_add_f32_e32 v49, v48, v47
	v_add_f32_e32 v43, v43, v45
	s_delay_alu instid0(VALU_DEP_2) | instskip(NEXT) | instid1(VALU_DEP_1)
	v_rcp_f32_e32 v45, v49
	v_add_f32_e32 v50, v46, v43
	v_sub_f32_e32 v48, v48, v49
	s_delay_alu instid0(VALU_DEP_1) | instskip(SKIP_2) | instid1(VALU_DEP_1)
	v_dual_sub_f32 v46, v46, v50 :: v_dual_add_f32 v47, v47, v48
	s_waitcnt_depctr 0xfff
	v_mul_f32_e32 v51, v50, v45
	v_dual_add_f32 v43, v43, v46 :: v_dual_mul_f32 v52, v49, v51
	s_delay_alu instid0(VALU_DEP_1) | instskip(NEXT) | instid1(VALU_DEP_1)
	v_fma_f32 v48, v51, v49, -v52
	v_fmac_f32_e32 v48, v51, v47
	s_delay_alu instid0(VALU_DEP_1) | instskip(NEXT) | instid1(VALU_DEP_1)
	v_add_f32_e32 v53, v52, v48
	v_sub_f32_e32 v54, v50, v53
	v_sub_f32_e32 v46, v53, v52
	s_delay_alu instid0(VALU_DEP_2) | instskip(NEXT) | instid1(VALU_DEP_2)
	v_sub_f32_e32 v50, v50, v54
	v_sub_f32_e32 v46, v46, v48
	s_delay_alu instid0(VALU_DEP_2) | instskip(NEXT) | instid1(VALU_DEP_1)
	v_sub_f32_e32 v50, v50, v53
	v_add_f32_e32 v43, v43, v50
	s_delay_alu instid0(VALU_DEP_1) | instskip(NEXT) | instid1(VALU_DEP_1)
	v_add_f32_e32 v43, v46, v43
	v_add_f32_e32 v46, v54, v43
	s_delay_alu instid0(VALU_DEP_1) | instskip(NEXT) | instid1(VALU_DEP_1)
	v_mul_f32_e32 v48, v45, v46
	v_dual_sub_f32 v53, v54, v46 :: v_dual_mul_f32 v50, v49, v48
	s_delay_alu instid0(VALU_DEP_1) | instskip(NEXT) | instid1(VALU_DEP_2)
	v_add_f32_e32 v43, v43, v53
	v_fma_f32 v49, v48, v49, -v50
	s_delay_alu instid0(VALU_DEP_1) | instskip(NEXT) | instid1(VALU_DEP_1)
	v_fmac_f32_e32 v49, v48, v47
	v_add_f32_e32 v47, v50, v49
	s_delay_alu instid0(VALU_DEP_1) | instskip(SKIP_1) | instid1(VALU_DEP_2)
	v_sub_f32_e32 v52, v46, v47
	v_sub_f32_e32 v50, v47, v50
	;; [unrolled: 1-line block ×3, first 2 shown]
	s_delay_alu instid0(VALU_DEP_1) | instskip(NEXT) | instid1(VALU_DEP_3)
	v_sub_f32_e32 v46, v46, v47
	v_sub_f32_e32 v47, v50, v49
	s_delay_alu instid0(VALU_DEP_2) | instskip(SKIP_1) | instid1(VALU_DEP_2)
	v_add_f32_e32 v43, v43, v46
	v_add_f32_e32 v46, v51, v48
	v_add_f32_e32 v43, v47, v43
	s_delay_alu instid0(VALU_DEP_2) | instskip(NEXT) | instid1(VALU_DEP_2)
	v_sub_f32_e32 v47, v46, v51
	v_add_f32_e32 v43, v52, v43
	s_delay_alu instid0(VALU_DEP_2) | instskip(NEXT) | instid1(VALU_DEP_2)
	v_sub_f32_e32 v47, v48, v47
	v_mul_f32_e32 v43, v45, v43
	s_delay_alu instid0(VALU_DEP_1) | instskip(NEXT) | instid1(VALU_DEP_1)
	v_add_f32_e32 v43, v47, v43
	v_add_f32_e32 v45, v46, v43
	s_delay_alu instid0(VALU_DEP_1) | instskip(NEXT) | instid1(VALU_DEP_1)
	v_mul_f32_e32 v47, v45, v45
	v_fmaak_f32 v48, s2, v47, 0x3ecc95a3
	v_mul_f32_e32 v49, v45, v47
	v_cmp_eq_f32_e64 s2, 0x7f800000, v44
	s_delay_alu instid0(VALU_DEP_3) | instskip(SKIP_2) | instid1(VALU_DEP_4)
	v_fmaak_f32 v47, v47, v48, 0x3f2aaada
	v_ldexp_f32 v48, v45, 1
	v_sub_f32_e32 v45, v45, v46
	s_or_b32 s2, s3, s2
	s_delay_alu instid0(VALU_DEP_3) | instskip(SKIP_1) | instid1(VALU_DEP_2)
	v_mul_f32_e32 v47, v49, v47
	v_mul_f32_e32 v49, 0x3f317218, v42
	v_dual_sub_f32 v43, v43, v45 :: v_dual_add_f32 v46, v48, v47
	s_delay_alu instid0(VALU_DEP_1) | instskip(NEXT) | instid1(VALU_DEP_2)
	v_ldexp_f32 v43, v43, 1
	v_sub_f32_e32 v45, v46, v48
	s_delay_alu instid0(VALU_DEP_4) | instskip(NEXT) | instid1(VALU_DEP_1)
	v_fma_f32 v48, 0x3f317218, v42, -v49
	v_dual_sub_f32 v45, v47, v45 :: v_dual_fmamk_f32 v42, v42, 0xb102e308, v48
	s_delay_alu instid0(VALU_DEP_1) | instskip(NEXT) | instid1(VALU_DEP_2)
	v_add_f32_e32 v43, v43, v45
	v_add_f32_e32 v45, v49, v42
	s_delay_alu instid0(VALU_DEP_2) | instskip(NEXT) | instid1(VALU_DEP_2)
	v_add_f32_e32 v47, v46, v43
	v_sub_f32_e32 v49, v45, v49
	s_delay_alu instid0(VALU_DEP_2) | instskip(SKIP_1) | instid1(VALU_DEP_3)
	v_add_f32_e32 v48, v45, v47
	v_sub_f32_e32 v46, v47, v46
	v_sub_f32_e32 v42, v42, v49
	s_delay_alu instid0(VALU_DEP_2) | instskip(NEXT) | instid1(VALU_DEP_1)
	v_dual_sub_f32 v50, v48, v45 :: v_dual_sub_f32 v43, v43, v46
	v_sub_f32_e32 v51, v48, v50
	s_delay_alu instid0(VALU_DEP_2) | instskip(NEXT) | instid1(VALU_DEP_2)
	v_dual_sub_f32 v46, v47, v50 :: v_dual_add_f32 v47, v42, v43
	v_sub_f32_e32 v45, v45, v51
	s_delay_alu instid0(VALU_DEP_1) | instskip(NEXT) | instid1(VALU_DEP_1)
	v_dual_add_f32 v45, v46, v45 :: v_dual_sub_f32 v46, v47, v42
	v_add_f32_e32 v45, v47, v45
	s_delay_alu instid0(VALU_DEP_2) | instskip(SKIP_1) | instid1(VALU_DEP_2)
	v_sub_f32_e32 v47, v47, v46
	v_sub_f32_e32 v43, v43, v46
	v_dual_add_f32 v49, v48, v45 :: v_dual_sub_f32 v42, v42, v47
	s_delay_alu instid0(VALU_DEP_1) | instskip(NEXT) | instid1(VALU_DEP_2)
	v_sub_f32_e32 v46, v49, v48
	v_add_f32_e32 v42, v43, v42
	s_delay_alu instid0(VALU_DEP_2) | instskip(NEXT) | instid1(VALU_DEP_1)
	v_sub_f32_e32 v43, v45, v46
	v_add_f32_e32 v42, v42, v43
	s_delay_alu instid0(VALU_DEP_1) | instskip(NEXT) | instid1(VALU_DEP_1)
	v_add_f32_e32 v42, v49, v42
	v_cndmask_b32_e64 v42, v42, v44, s2
.LBB5_4:
	s_or_b32 exec_lo, exec_lo, s4
	s_load_b128 s[40:43], s[0:1], 0x70
	s_delay_alu instid0(VALU_DEP_1) | instskip(NEXT) | instid1(VALU_DEP_1)
	v_dual_mov_b32 v81, 0 :: v_dual_mul_f32 v46, v42, v15
	v_dual_mul_f32 v43, v42, v13 :: v_dual_mul_f32 v94, 0x3fb8aa3b, v46
	s_delay_alu instid0(VALU_DEP_1) | instskip(SKIP_1) | instid1(VALU_DEP_3)
	v_dual_mul_f32 v45, v42, v14 :: v_dual_mul_f32 v92, 0x3fb8aa3b, v43
	v_mul_f32_e32 v50, v42, v11
	v_fma_f32 v112, 0x3fb8aa3b, v46, -v94
	s_delay_alu instid0(VALU_DEP_3) | instskip(NEXT) | instid1(VALU_DEP_3)
	v_mul_f32_e32 v93, 0x3fb8aa3b, v45
	v_dual_mul_f32 v47, v42, v16 :: v_dual_mul_f32 v98, 0x3fb8aa3b, v50
	v_mul_f32_e32 v48, v42, v9
	v_fma_f32 v108, 0x3fb8aa3b, v43, -v92
	v_mul_f32_e32 v91, v42, v4
	s_delay_alu instid0(VALU_DEP_4)
	v_mul_f32_e32 v95, 0x3fb8aa3b, v47
	s_waitcnt lgkmcnt(0)
	s_mul_i32 s1, s14, s43
	s_mul_hi_u32 s2, s14, s42
	v_fmac_f32_e32 v108, 0x32a5705f, v43
	s_mul_i32 s0, s14, s42
	s_add_i32 s1, s2, s1
	v_dual_mul_f32 v49, v42, v10 :: v_dual_mul_f32 v96, 0x3fb8aa3b, v48
	s_lshl_b64 s[2:3], s[0:1], 4
	s_mul_i32 s0, s14, s55
	s_add_u32 s1, s50, s2
	s_addc_u32 s4, s51, s3
	s_ashr_i32 s34, s59, 2
	s_add_u32 s0, s38, s0
	s_addc_u32 s3, s39, 0
	s_add_u32 s2, s0, s6
	s_addc_u32 s3, s3, s7
	v_dual_mul_f32 v86, v42, v7 :: v_dual_mul_f32 v97, 0x3fb8aa3b, v49
	global_load_b32 v44, v39, s[2:3]
	v_mul_f32_e32 v51, v42, v12
	v_rndne_f32_e32 v109, v92
	v_mul_f32_e32 v102, 0x3fb8aa3b, v86
	v_dual_mul_f32 v52, v42, v5 :: v_dual_mul_f32 v107, 0x3fb8aa3b, v91
	s_delay_alu instid0(VALU_DEP_3) | instskip(NEXT) | instid1(VALU_DEP_2)
	v_dual_mul_f32 v99, 0x3fb8aa3b, v51 :: v_dual_sub_f32 v92, v92, v109
	v_dual_mul_f32 v85, v42, v6 :: v_dual_mul_f32 v100, 0x3fb8aa3b, v52
	v_mul_f32_e32 v90, v42, v3
	v_fma_f32 v110, 0x3fb8aa3b, v45, -v93
	v_rndne_f32_e32 v111, v93
	s_delay_alu instid0(VALU_DEP_4) | instskip(NEXT) | instid1(VALU_DEP_4)
	v_mul_f32_e32 v101, 0x3fb8aa3b, v85
	v_dual_mul_f32 v87, v42, v8 :: v_dual_mul_f32 v106, 0x3fb8aa3b, v90
	v_mul_f32_e32 v88, v42, v1
	v_rndne_f32_e32 v113, v94
	v_fma_f32 v114, 0x3fb8aa3b, v47, -v95
	s_delay_alu instid0(VALU_DEP_4) | instskip(NEXT) | instid1(VALU_DEP_4)
	v_mul_f32_e32 v103, 0x3fb8aa3b, v87
	v_dual_mul_f32 v89, v42, v2 :: v_dual_mul_f32 v104, 0x3fb8aa3b, v88
	v_dual_fmac_f32 v110, 0x32a5705f, v45 :: v_dual_sub_f32 v93, v93, v111
	s_delay_alu instid0(VALU_DEP_2)
	v_dual_add_f32 v92, v92, v108 :: v_dual_mul_f32 v105, 0x3fb8aa3b, v89
	v_rndne_f32_e32 v115, v95
	v_rndne_f32_e32 v119, v97
	v_fmac_f32_e32 v112, 0x32a5705f, v46
	v_sub_f32_e32 v94, v94, v113
	v_dual_fmac_f32 v114, 0x32a5705f, v47 :: v_dual_add_f32 v93, v93, v110
	v_exp_f32_e32 v92, v92
	ds_load_b128 v[53:56], v81
	ds_load_b128 v[57:60], v81 offset:16
	ds_load_b128 v[61:64], v81 offset:32
	;; [unrolled: 1-line block ×7, first 2 shown]
	v_fma_f32 v116, 0x3fb8aa3b, v48, -v96
	v_rndne_f32_e32 v117, v96
	v_fma_f32 v118, 0x3fb8aa3b, v49, -v97
	v_fma_f32 v122, 0x3fb8aa3b, v51, -v99
	v_sub_f32_e32 v95, v95, v115
	v_sub_f32_e32 v97, v97, v119
	v_cvt_i32_f32_e32 v109, v109
	v_exp_f32_e32 v93, v93
	v_rndne_f32_e32 v123, v99
	v_rndne_f32_e32 v127, v101
	v_fmac_f32_e32 v116, 0x32a5705f, v48
	v_sub_f32_e32 v96, v96, v117
	v_dual_fmac_f32 v122, 0x32a5705f, v51 :: v_dual_add_f32 v95, v95, v114
	v_cvt_i32_f32_e32 v111, v111
	v_ldexp_f32 v92, v92, v109
	v_cmp_ngt_f32_e64 s0, 0xc2ce8ed0, v43
	v_fma_f32 v120, 0x3fb8aa3b, v50, -v98
	v_rndne_f32_e32 v121, v98
	v_fma_f32 v124, 0x3fb8aa3b, v52, -v100
	v_fma_f32 v126, 0x3fb8aa3b, v85, -v101
	v_rndne_f32_e32 v131, v103
	v_dual_fmac_f32 v118, 0x32a5705f, v49 :: v_dual_sub_f32 v99, v99, v123
	v_sub_f32_e32 v101, v101, v127
	v_cvt_i32_f32_e32 v113, v113
	v_add_f32_e32 v96, v96, v116
	v_exp_f32_e32 v95, v95
	v_ldexp_f32 v93, v93, v111
	v_cndmask_b32_e64 v92, 0, v92, s0
	v_cmp_ngt_f32_e64 s0, 0xc2ce8ed0, v45
	v_fma_f32 v130, 0x3fb8aa3b, v87, -v103
	v_rndne_f32_e32 v135, v105
	v_rndne_f32_e32 v139, v107
	v_fmac_f32_e32 v120, 0x32a5705f, v50
	v_dual_sub_f32 v98, v98, v121 :: v_dual_sub_f32 v103, v103, v131
	v_dual_fmac_f32 v124, 0x32a5705f, v52 :: v_dual_add_f32 v97, v97, v118
	v_cvt_i32_f32_e32 v115, v115
	v_exp_f32_e32 v96, v96
	v_cndmask_b32_e64 v93, 0, v93, s0
	v_cmp_ngt_f32_e64 s0, 0xc2ce8ed0, v46
	v_rndne_f32_e32 v125, v100
	v_fma_f32 v134, 0x3fb8aa3b, v89, -v105
	v_fma_f32 v138, 0x3fb8aa3b, v91, -v107
	v_sub_f32_e32 v105, v105, v135
	v_sub_f32_e32 v107, v107, v139
	v_cvt_i32_f32_e32 v117, v117
	v_add_f32_e32 v98, v98, v120
	v_exp_f32_e32 v97, v97
	v_ldexp_f32 v95, v95, v115
	v_dual_sub_f32 v100, v100, v125 :: v_dual_add_f32 v99, v99, v122
	v_cvt_i32_f32_e32 v119, v119
	v_exp_f32_e32 v98, v98
	v_ldexp_f32 v96, v96, v117
	v_fma_f32 v128, 0x3fb8aa3b, v86, -v102
	v_rndne_f32_e32 v129, v102
	v_cvt_i32_f32_e32 v121, v121
	v_add_f32_e32 v100, v100, v124
	v_exp_f32_e32 v99, v99
	v_ldexp_f32 v97, v97, v119
	v_cvt_i32_f32_e32 v123, v123
	v_fma_f32 v132, 0x3fb8aa3b, v88, -v104
	v_exp_f32_e32 v100, v100
	v_ldexp_f32 v98, v98, v121
	v_rndne_f32_e32 v133, v104
	v_cvt_i32_f32_e32 v125, v125
	v_cvt_i32_f32_e32 v127, v127
	v_fma_f32 v136, 0x3fb8aa3b, v90, -v106
	v_ldexp_f32 v99, v99, v123
	v_rndne_f32_e32 v137, v106
	v_cvt_i32_f32_e32 v131, v131
	v_cvt_i32_f32_e32 v135, v135
	v_ldexp_f32 v100, v100, v125
	v_fmac_f32_e32 v136, 0x32a5705f, v90
	v_sub_f32_e32 v106, v106, v137
	v_cvt_i32_f32_e32 v137, v137
	v_cvt_i32_f32_e32 v139, v139
	s_waitcnt vmcnt(0)
	v_mul_f32_e32 v108, v42, v44
	v_add_f32_e32 v94, v94, v112
	v_fmac_f32_e32 v134, 0x32a5705f, v89
	v_fmac_f32_e32 v128, 0x32a5705f, v86
	;; [unrolled: 1-line block ×3, first 2 shown]
	s_waitcnt lgkmcnt(7)
	v_mul_f32_e32 v42, v108, v53
	v_exp_f32_e32 v94, v94
	v_dual_mul_f32 v53, v108, v54 :: v_dual_fmac_f32 v130, 0x32a5705f, v87
	v_dual_add_f32 v105, v105, v134 :: v_dual_fmac_f32 v126, 0x32a5705f, v85
	v_dual_fmac_f32 v132, 0x32a5705f, v88 :: v_dual_add_f32 v107, v107, v138
	s_delay_alu instid0(VALU_DEP_3) | instskip(NEXT) | instid1(VALU_DEP_3)
	v_dual_add_f32 v103, v103, v130 :: v_dual_sub_f32 v102, v102, v129
	v_add_f32_e32 v101, v101, v126
	s_waitcnt_depctr 0xfff
	v_ldexp_f32 v94, v94, v113
	v_sub_f32_e32 v104, v104, v133
	v_cvt_i32_f32_e32 v129, v129
	v_add_f32_e32 v102, v102, v128
	v_exp_f32_e32 v101, v101
	v_cndmask_b32_e64 v94, 0, v94, s0
	v_cmp_ngt_f32_e64 s0, 0xc2ce8ed0, v47
	v_add_f32_e32 v104, v104, v132
	v_exp_f32_e32 v102, v102
	v_exp_f32_e32 v103, v103
	v_cvt_i32_f32_e32 v133, v133
	v_cndmask_b32_e64 v95, 0, v95, s0
	v_cmp_ngt_f32_e64 s0, 0xc2ce8ed0, v48
	v_exp_f32_e32 v104, v104
	v_ldexp_f32 v101, v101, v127
	v_add_f32_e32 v106, v106, v136
	v_exp_f32_e32 v105, v105
	v_cndmask_b32_e64 v96, 0, v96, s0
	v_cmp_ngt_f32_e64 s0, 0xc2ce8ed0, v49
	v_ldexp_f32 v102, v102, v129
	v_ldexp_f32 v103, v103, v131
	v_exp_f32_e32 v106, v106
	v_exp_f32_e32 v107, v107
	v_cndmask_b32_e64 v97, 0, v97, s0
	v_cmp_ngt_f32_e64 s0, 0xc2ce8ed0, v50
	v_ldexp_f32 v104, v104, v133
	v_ldexp_f32 v105, v105, v135
	s_delay_alu instid0(VALU_DEP_3) | instskip(SKIP_1) | instid1(TRANS32_DEP_2)
	v_cndmask_b32_e64 v98, 0, v98, s0
	v_cmp_ngt_f32_e64 s0, 0xc2ce8ed0, v51
	v_ldexp_f32 v106, v106, v137
	s_delay_alu instid0(TRANS32_DEP_1) | instskip(NEXT) | instid1(VALU_DEP_3)
	v_ldexp_f32 v107, v107, v139
	v_cndmask_b32_e64 v99, 0, v99, s0
	v_cmp_ngt_f32_e64 s0, 0xc2ce8ed0, v52
	s_delay_alu instid0(VALU_DEP_1) | instskip(SKIP_1) | instid1(VALU_DEP_1)
	v_cndmask_b32_e64 v100, 0, v100, s0
	v_cmp_ngt_f32_e64 s0, 0xc2ce8ed0, v85
	v_cndmask_b32_e64 v101, 0, v101, s0
	v_cmp_ngt_f32_e64 s0, 0xc2ce8ed0, v86
	s_delay_alu instid0(VALU_DEP_1) | instskip(SKIP_1) | instid1(VALU_DEP_1)
	v_cndmask_b32_e64 v102, 0, v102, s0
	v_cmp_ngt_f32_e64 s0, 0xc2ce8ed0, v87
	;; [unrolled: 5-line block ×3, first 2 shown]
	v_cndmask_b32_e64 v105, 0, v105, s0
	v_cmp_ngt_f32_e64 s0, 0xc2ce8ed0, v90
	s_delay_alu instid0(VALU_DEP_1) | instskip(SKIP_1) | instid1(VALU_DEP_1)
	v_cndmask_b32_e64 v106, 0, v106, s0
	v_cmp_nlt_f32_e64 s0, 0x42b17218, v43
	v_cndmask_b32_e64 v43, 0x7f800000, v92, s0
	v_cmp_ngt_f32_e64 s0, 0xc2ce8ed0, v91
	s_delay_alu instid0(VALU_DEP_2) | instskip(NEXT) | instid1(VALU_DEP_2)
	v_fmac_f32_e32 v42, v29, v43
	v_cndmask_b32_e64 v92, 0, v107, s0
	v_cmp_nlt_f32_e64 s0, 0x42b17218, v45
	v_mul_f32_e32 v29, v108, v55
	s_delay_alu instid0(VALU_DEP_2) | instskip(SKIP_1) | instid1(VALU_DEP_2)
	v_cndmask_b32_e64 v44, 0x7f800000, v93, s0
	v_cmp_nlt_f32_e64 s0, 0x42b17218, v46
	v_fmac_f32_e32 v53, v30, v44
	s_delay_alu instid0(VALU_DEP_2) | instskip(SKIP_1) | instid1(VALU_DEP_2)
	v_cndmask_b32_e64 v43, 0x7f800000, v94, s0
	v_cmp_nlt_f32_e64 s0, 0x42b17218, v47
	v_dual_mul_f32 v30, v108, v56 :: v_dual_fmac_f32 v29, v31, v43
	s_delay_alu instid0(VALU_DEP_2) | instskip(SKIP_3) | instid1(VALU_DEP_3)
	v_cndmask_b32_e64 v44, 0x7f800000, v95, s0
	v_cmp_nlt_f32_e64 s0, 0x42b17218, v48
	s_waitcnt lgkmcnt(6)
	v_mul_f32_e32 v31, v108, v57
	v_fmac_f32_e32 v30, v32, v44
	s_delay_alu instid0(VALU_DEP_3)
	v_cndmask_b32_e64 v43, 0x7f800000, v96, s0
	v_cmp_nlt_f32_e64 s0, 0x42b17218, v49
	v_mul_f32_e32 v32, v108, v58
	s_waitcnt lgkmcnt(5)
	v_mul_f32_e32 v49, v108, v64
	v_fmac_f32_e32 v31, v25, v43
	v_mul_f32_e32 v43, v108, v60
	v_cndmask_b32_e64 v44, 0x7f800000, v97, s0
	v_cmp_nlt_f32_e64 s0, 0x42b17218, v50
	v_mul_f32_e32 v25, v108, v59
	s_waitcnt lgkmcnt(3)
	v_fma_f32 v46, v69, v42, 0
	v_fmac_f32_e32 v32, v26, v44
	v_cndmask_b32_e64 v45, 0x7f800000, v98, s0
	v_cmp_nlt_f32_e64 s0, 0x42b17218, v51
	v_mul_f32_e32 v44, v108, v61
	v_fmac_f32_e32 v46, v70, v53
	s_delay_alu instid0(VALU_DEP_4) | instskip(NEXT) | instid1(VALU_DEP_4)
	v_fmac_f32_e32 v25, v27, v45
	v_cndmask_b32_e64 v26, 0x7f800000, v99, s0
	v_cmp_nlt_f32_e64 s0, 0x42b17218, v52
	v_mul_f32_e32 v45, v108, v62
	s_delay_alu instid0(VALU_DEP_3) | instskip(NEXT) | instid1(VALU_DEP_3)
	v_fmac_f32_e32 v43, v28, v26
	v_cndmask_b32_e64 v27, 0x7f800000, v100, s0
	v_cmp_nlt_f32_e64 s0, 0x42b17218, v85
	s_delay_alu instid0(VALU_DEP_2) | instskip(NEXT) | instid1(VALU_DEP_2)
	v_fmac_f32_e32 v44, v21, v27
	v_cndmask_b32_e64 v26, 0x7f800000, v101, s0
	v_cmp_nlt_f32_e64 s0, 0x42b17218, v86
	s_delay_alu instid0(VALU_DEP_2) | instskip(NEXT) | instid1(VALU_DEP_2)
	v_fmac_f32_e32 v45, v22, v26
	v_cndmask_b32_e64 v21, 0x7f800000, v102, s0
	v_cmp_nlt_f32_e64 s0, 0x42b17218, v87
	s_delay_alu instid0(VALU_DEP_1) | instskip(SKIP_1) | instid1(VALU_DEP_2)
	v_cndmask_b32_e64 v22, 0x7f800000, v103, s0
	v_cmp_nlt_f32_e64 s0, 0x42b17218, v88
	v_dual_fmac_f32 v49, v24, v22 :: v_dual_fmac_f32 v46, v71, v29
	v_mul_f32_e32 v51, v108, v66
	v_mul_f32_e32 v47, v108, v63
	;; [unrolled: 1-line block ×4, first 2 shown]
	v_fmac_f32_e32 v46, v72, v30
	s_delay_alu instid0(VALU_DEP_4) | instskip(SKIP_4) | instid1(VALU_DEP_3)
	v_dual_mul_f32 v48, v108, v68 :: v_dual_fmac_f32 v47, v23, v21
	v_cndmask_b32_e64 v21, 0x7f800000, v104, s0
	v_cmp_nlt_f32_e64 s0, 0x42b17218, v89
	s_waitcnt lgkmcnt(2)
	v_fmac_f32_e32 v46, v73, v31
	v_fmac_f32_e32 v50, v17, v21
	s_delay_alu instid0(VALU_DEP_3) | instskip(NEXT) | instid1(VALU_DEP_3)
	v_cndmask_b32_e64 v22, 0x7f800000, v105, s0
	v_fmac_f32_e32 v46, v74, v32
	v_cmp_nlt_f32_e64 s0, 0x42b17218, v90
	s_delay_alu instid0(VALU_DEP_2) | instskip(NEXT) | instid1(VALU_DEP_2)
	v_dual_fmac_f32 v51, v18, v22 :: v_dual_fmac_f32 v46, v75, v25
	v_cndmask_b32_e64 v17, 0x7f800000, v106, s0
	v_cmp_nlt_f32_e64 s0, 0x42b17218, v91
	s_delay_alu instid0(VALU_DEP_3) | instskip(NEXT) | instid1(VALU_DEP_3)
	v_fmac_f32_e32 v46, v76, v43
	v_fmac_f32_e32 v52, v19, v17
	s_delay_alu instid0(VALU_DEP_3)
	v_cndmask_b32_e64 v18, 0x7f800000, v92, s0
	s_add_u32 s0, s1, s6
	v_add_co_u32 v19, s2, s2, v39
	s_waitcnt lgkmcnt(1)
	v_fmac_f32_e32 v46, v77, v44
	v_fmac_f32_e32 v48, v20, v18
	s_addc_u32 s1, s4, s7
	v_add_co_ci_u32_e64 v20, null, s3, 0, s2
	s_delay_alu instid0(VALU_DEP_3) | instskip(SKIP_1) | instid1(VALU_DEP_1)
	v_fmac_f32_e32 v46, v78, v45
	v_add_co_u32 v17, s2, s0, v39
	v_add_co_ci_u32_e64 v18, null, s1, 0, s2
	s_delay_alu instid0(VALU_DEP_3) | instskip(SKIP_3) | instid1(VALU_DEP_1)
	v_fmac_f32_e32 v46, v79, v47
	s_ashr_i32 s36, s5, 2
	s_ashr_i32 s35, s34, 31
	;; [unrolled: 1-line block ×3, first 2 shown]
	v_fmac_f32_e32 v46, v80, v49
	s_waitcnt lgkmcnt(0)
	s_delay_alu instid0(VALU_DEP_1) | instskip(NEXT) | instid1(VALU_DEP_1)
	v_fmac_f32_e32 v46, v81, v50
	v_fmac_f32_e32 v46, v82, v51
	s_delay_alu instid0(VALU_DEP_1) | instskip(NEXT) | instid1(VALU_DEP_1)
	v_fmac_f32_e32 v46, v83, v52
	v_fmac_f32_e32 v46, v84, v48
	global_store_b32 v39, v46, s[0:1]
	s_waitcnt_vscnt null, 0x0
	s_barrier
	buffer_gl0_inv
	s_and_saveexec_b32 s1, vcc_lo
	s_cbranch_execz .LBB5_6
; %bb.5:
	s_lshl_b64 s[2:3], s[34:35], 2
	s_delay_alu instid0(SALU_CYCLE_1) | instskip(NEXT) | instid1(VALU_DEP_1)
	v_add_co_u32 v21, s0, v35, s2
	v_add_co_ci_u32_e64 v22, s0, s3, v36, s0
	s_lshl_b64 s[2:3], s[36:37], 2
	s_delay_alu instid0(SALU_CYCLE_1) | instskip(NEXT) | instid1(VALU_DEP_1)
	v_add_co_u32 v23, s0, v37, s2
	v_add_co_ci_u32_e64 v24, s0, s3, v38, s0
	global_load_b32 v21, v[21:22], off
	global_load_b32 v22, v[23:24], off
	s_waitcnt vmcnt(1)
	ds_store_b32 v39, v21
	s_waitcnt vmcnt(0)
	ds_store_b32 v0, v22
.LBB5_6:
	s_or_b32 exec_lo, exec_lo, s1
	s_ashr_i32 s0, s56, 2
	s_waitcnt lgkmcnt(0)
	s_ashr_i32 s1, s0, 31
	s_barrier
	s_lshl_b64 s[44:45], s[0:1], 2
	buffer_gl0_inv
	v_add_co_u32 v21, s0, v40, s44
	s_delay_alu instid0(VALU_DEP_1)
	v_add_co_ci_u32_e64 v22, s0, s45, v41, s0
	s_mov_b32 s2, exec_lo
	global_load_b32 v26, v[21:22], off
	s_waitcnt vmcnt(0)
	v_cmpx_ge_f32_e32 0x41a00000, v26
	s_cbranch_execz .LBB5_8
; %bb.7:
	v_mul_f32_e32 v23, 0x3fb8aa3b, v26
	v_cmp_ngt_f32_e64 s0, 0xc2ce8ed0, v26
	s_delay_alu instid0(VALU_DEP_2) | instskip(SKIP_1) | instid1(VALU_DEP_2)
	v_rndne_f32_e32 v24, v23
	v_fma_f32 v27, 0x3fb8aa3b, v26, -v23
	v_sub_f32_e32 v23, v23, v24
	s_delay_alu instid0(VALU_DEP_2) | instskip(SKIP_1) | instid1(VALU_DEP_2)
	v_fmamk_f32 v27, v26, 0x32a5705f, v27
	v_cvt_i32_f32_e32 v24, v24
	v_add_f32_e32 v23, v23, v27
	s_delay_alu instid0(VALU_DEP_1) | instskip(SKIP_2) | instid1(VALU_DEP_1)
	v_exp_f32_e32 v23, v23
	s_waitcnt_depctr 0xfff
	v_ldexp_f32 v23, v23, v24
	v_cndmask_b32_e64 v23, 0, v23, s0
	v_cmp_nlt_f32_e64 s0, 0x42b17218, v26
	s_delay_alu instid0(VALU_DEP_1) | instskip(NEXT) | instid1(VALU_DEP_1)
	v_cndmask_b32_e64 v26, 0x7f800000, v23, s0
	v_add_f32_e32 v27, 1.0, v26
	v_cmp_gt_f32_e64 s1, 0x33800000, v26
	s_delay_alu instid0(VALU_DEP_2) | instskip(NEXT) | instid1(VALU_DEP_1)
	v_cvt_f64_f32_e32 v[23:24], v27
	v_frexp_exp_i32_f64_e32 v23, v[23:24]
	v_frexp_mant_f32_e32 v24, v27
	s_delay_alu instid0(VALU_DEP_1) | instskip(SKIP_1) | instid1(VALU_DEP_1)
	v_cmp_gt_f32_e64 s0, 0x3f2aaaab, v24
	v_add_f32_e32 v24, -1.0, v27
	v_sub_f32_e32 v40, v24, v27
	v_sub_f32_e32 v24, v26, v24
	s_delay_alu instid0(VALU_DEP_2) | instskip(NEXT) | instid1(VALU_DEP_1)
	v_add_f32_e32 v40, 1.0, v40
	v_add_f32_e32 v24, v24, v40
	v_subrev_co_ci_u32_e64 v23, s0, 0, v23, s0
	s_mov_b32 s0, 0x3e9b6dac
	s_delay_alu instid0(VALU_DEP_1) | instskip(SKIP_1) | instid1(VALU_DEP_2)
	v_sub_nc_u32_e32 v28, 0, v23
	v_cvt_f32_i32_e32 v23, v23
	v_ldexp_f32 v27, v27, v28
	v_ldexp_f32 v24, v24, v28
	s_delay_alu instid0(VALU_DEP_2) | instskip(SKIP_1) | instid1(VALU_DEP_1)
	v_add_f32_e32 v41, 1.0, v27
	v_add_f32_e32 v28, -1.0, v27
	v_add_f32_e32 v46, 1.0, v28
	s_delay_alu instid0(VALU_DEP_3) | instskip(NEXT) | instid1(VALU_DEP_1)
	v_add_f32_e32 v40, -1.0, v41
	v_sub_f32_e32 v40, v27, v40
	s_delay_alu instid0(VALU_DEP_1) | instskip(NEXT) | instid1(VALU_DEP_1)
	v_dual_sub_f32 v27, v27, v46 :: v_dual_add_f32 v40, v24, v40
	v_add_f32_e32 v46, v41, v40
	s_delay_alu instid0(VALU_DEP_1) | instskip(NEXT) | instid1(VALU_DEP_1)
	v_sub_f32_e32 v41, v41, v46
	v_add_f32_e32 v40, v40, v41
	s_delay_alu instid0(VALU_DEP_4) | instskip(SKIP_1) | instid1(VALU_DEP_1)
	v_add_f32_e32 v24, v24, v27
	v_rcp_f32_e32 v27, v46
	v_add_f32_e32 v54, v28, v24
	s_waitcnt_depctr 0xfff
	v_dual_sub_f32 v28, v28, v54 :: v_dual_mul_f32 v55, v54, v27
	s_delay_alu instid0(VALU_DEP_1) | instskip(NEXT) | instid1(VALU_DEP_1)
	v_mul_f32_e32 v56, v46, v55
	v_fma_f32 v41, v55, v46, -v56
	s_delay_alu instid0(VALU_DEP_1) | instskip(NEXT) | instid1(VALU_DEP_4)
	v_fmac_f32_e32 v41, v55, v40
	v_add_f32_e32 v24, v24, v28
	s_delay_alu instid0(VALU_DEP_2) | instskip(NEXT) | instid1(VALU_DEP_1)
	v_add_f32_e32 v57, v56, v41
	v_sub_f32_e32 v58, v54, v57
	v_sub_f32_e32 v28, v57, v56
	s_delay_alu instid0(VALU_DEP_2) | instskip(NEXT) | instid1(VALU_DEP_2)
	v_sub_f32_e32 v54, v54, v58
	v_sub_f32_e32 v28, v28, v41
	s_delay_alu instid0(VALU_DEP_2) | instskip(NEXT) | instid1(VALU_DEP_1)
	v_sub_f32_e32 v54, v54, v57
	v_add_f32_e32 v24, v24, v54
	s_delay_alu instid0(VALU_DEP_1) | instskip(NEXT) | instid1(VALU_DEP_1)
	v_add_f32_e32 v24, v28, v24
	v_add_f32_e32 v28, v58, v24
	s_delay_alu instid0(VALU_DEP_1) | instskip(SKIP_1) | instid1(VALU_DEP_2)
	v_mul_f32_e32 v41, v27, v28
	v_sub_f32_e32 v57, v58, v28
	v_mul_f32_e32 v54, v46, v41
	s_delay_alu instid0(VALU_DEP_2) | instskip(NEXT) | instid1(VALU_DEP_2)
	v_add_f32_e32 v24, v24, v57
	v_fma_f32 v46, v41, v46, -v54
	s_delay_alu instid0(VALU_DEP_1) | instskip(NEXT) | instid1(VALU_DEP_1)
	v_fmac_f32_e32 v46, v41, v40
	v_add_f32_e32 v40, v54, v46
	s_delay_alu instid0(VALU_DEP_1) | instskip(SKIP_1) | instid1(VALU_DEP_2)
	v_sub_f32_e32 v56, v28, v40
	v_sub_f32_e32 v54, v40, v54
	;; [unrolled: 1-line block ×3, first 2 shown]
	s_delay_alu instid0(VALU_DEP_1) | instskip(NEXT) | instid1(VALU_DEP_3)
	v_sub_f32_e32 v28, v28, v40
	v_sub_f32_e32 v40, v54, v46
	s_delay_alu instid0(VALU_DEP_2) | instskip(SKIP_1) | instid1(VALU_DEP_2)
	v_add_f32_e32 v24, v24, v28
	v_add_f32_e32 v28, v55, v41
	;; [unrolled: 1-line block ×3, first 2 shown]
	s_delay_alu instid0(VALU_DEP_2) | instskip(NEXT) | instid1(VALU_DEP_2)
	v_sub_f32_e32 v40, v28, v55
	v_add_f32_e32 v24, v56, v24
	s_delay_alu instid0(VALU_DEP_2) | instskip(NEXT) | instid1(VALU_DEP_2)
	v_sub_f32_e32 v40, v41, v40
	v_mul_f32_e32 v24, v27, v24
	s_delay_alu instid0(VALU_DEP_1) | instskip(NEXT) | instid1(VALU_DEP_1)
	v_add_f32_e32 v24, v40, v24
	v_add_f32_e32 v27, v28, v24
	s_delay_alu instid0(VALU_DEP_1) | instskip(NEXT) | instid1(VALU_DEP_1)
	v_mul_f32_e32 v40, v27, v27
	v_fmaak_f32 v41, s0, v40, 0x3ecc95a3
	v_mul_f32_e32 v46, v27, v40
	v_cmp_eq_f32_e64 s0, 0x7f800000, v26
	s_delay_alu instid0(VALU_DEP_3) | instskip(SKIP_2) | instid1(VALU_DEP_4)
	v_fmaak_f32 v40, v40, v41, 0x3f2aaada
	v_ldexp_f32 v41, v27, 1
	v_sub_f32_e32 v27, v27, v28
	s_or_b32 s0, s1, s0
	s_delay_alu instid0(VALU_DEP_3) | instskip(SKIP_1) | instid1(VALU_DEP_3)
	v_mul_f32_e32 v40, v46, v40
	v_mul_f32_e32 v46, 0x3f317218, v23
	v_sub_f32_e32 v24, v24, v27
	s_delay_alu instid0(VALU_DEP_3) | instskip(NEXT) | instid1(VALU_DEP_2)
	v_add_f32_e32 v28, v41, v40
	v_ldexp_f32 v24, v24, 1
	s_delay_alu instid0(VALU_DEP_2) | instskip(SKIP_1) | instid1(VALU_DEP_2)
	v_sub_f32_e32 v27, v28, v41
	v_fma_f32 v41, 0x3f317218, v23, -v46
	v_sub_f32_e32 v27, v40, v27
	s_delay_alu instid0(VALU_DEP_1) | instskip(NEXT) | instid1(VALU_DEP_1)
	v_dual_fmamk_f32 v23, v23, 0xb102e308, v41 :: v_dual_add_f32 v24, v24, v27
	v_dual_add_f32 v27, v46, v23 :: v_dual_add_f32 v40, v28, v24
	s_delay_alu instid0(VALU_DEP_1) | instskip(NEXT) | instid1(VALU_DEP_2)
	v_sub_f32_e32 v46, v27, v46
	v_add_f32_e32 v41, v27, v40
	s_delay_alu instid0(VALU_DEP_2) | instskip(NEXT) | instid1(VALU_DEP_2)
	v_dual_sub_f32 v28, v40, v28 :: v_dual_sub_f32 v23, v23, v46
	v_sub_f32_e32 v54, v41, v27
	s_delay_alu instid0(VALU_DEP_1) | instskip(SKIP_1) | instid1(VALU_DEP_2)
	v_dual_sub_f32 v24, v24, v28 :: v_dual_sub_f32 v55, v41, v54
	v_sub_f32_e32 v28, v40, v54
	v_add_f32_e32 v40, v23, v24
	s_delay_alu instid0(VALU_DEP_3) | instskip(NEXT) | instid1(VALU_DEP_1)
	v_sub_f32_e32 v27, v27, v55
	v_add_f32_e32 v27, v28, v27
	s_delay_alu instid0(VALU_DEP_3) | instskip(NEXT) | instid1(VALU_DEP_2)
	v_sub_f32_e32 v28, v40, v23
	v_add_f32_e32 v27, v40, v27
	s_delay_alu instid0(VALU_DEP_2) | instskip(SKIP_1) | instid1(VALU_DEP_2)
	v_sub_f32_e32 v40, v40, v28
	v_sub_f32_e32 v24, v24, v28
	v_dual_add_f32 v46, v41, v27 :: v_dual_sub_f32 v23, v23, v40
	s_delay_alu instid0(VALU_DEP_1) | instskip(NEXT) | instid1(VALU_DEP_1)
	v_dual_sub_f32 v28, v46, v41 :: v_dual_add_f32 v23, v24, v23
	v_sub_f32_e32 v24, v27, v28
	s_delay_alu instid0(VALU_DEP_1) | instskip(NEXT) | instid1(VALU_DEP_1)
	v_add_f32_e32 v23, v23, v24
	v_add_f32_e32 v23, v46, v23
	s_delay_alu instid0(VALU_DEP_1)
	v_cndmask_b32_e64 v26, v23, v26, s0
.LBB5_8:
	s_or_b32 exec_lo, exec_lo, s2
	s_ashr_i32 s38, s54, 2
	s_delay_alu instid0(VALU_DEP_1) | instskip(SKIP_3) | instid1(VALU_DEP_2)
	v_dual_mul_f32 v27, v26, v13 :: v_dual_mov_b32 v46, 0
	s_ashr_i32 s39, s38, 31
	v_mul_f32_e32 v40, v26, v14
	s_lshl_b64 s[2:3], s[38:39], 2
	v_mul_f32_e32 v99, 0x3fb8aa3b, v27
	v_add_co_u32 v23, s0, v19, s2
	s_delay_alu instid0(VALU_DEP_1)
	v_add_co_ci_u32_e64 v24, s0, s3, v20, s0
	v_dual_mul_f32 v41, v26, v15 :: v_dual_mul_f32 v100, 0x3fb8aa3b, v40
	v_mul_f32_e32 v54, v26, v16
	global_load_b32 v28, v[23:24], off
	ds_load_b128 v[56:59], v46
	ds_load_b128 v[60:63], v46 offset:16
	ds_load_b128 v[64:67], v46 offset:32
	;; [unrolled: 1-line block ×3, first 2 shown]
	v_mul_f32_e32 v101, 0x3fb8aa3b, v41
	v_dual_mul_f32 v55, v26, v9 :: v_dual_mul_f32 v102, 0x3fb8aa3b, v54
	v_mul_f32_e32 v88, v26, v10
	ds_load_b128 v[72:75], v46 offset:64
	ds_load_b128 v[76:79], v46 offset:80
	;; [unrolled: 1-line block ×4, first 2 shown]
	v_mul_f32_e32 v103, 0x3fb8aa3b, v55
	v_dual_mul_f32 v89, v26, v11 :: v_dual_mul_f32 v104, 0x3fb8aa3b, v88
	v_mul_f32_e32 v90, v26, v12
	v_fma_f32 v46, 0x3fb8aa3b, v27, -v99
	v_rndne_f32_e32 v115, v99
	s_delay_alu instid0(VALU_DEP_4) | instskip(NEXT) | instid1(VALU_DEP_4)
	v_mul_f32_e32 v105, 0x3fb8aa3b, v89
	v_dual_mul_f32 v91, v26, v5 :: v_dual_mul_f32 v106, 0x3fb8aa3b, v90
	v_mul_f32_e32 v92, v26, v6
	v_fma_f32 v116, 0x3fb8aa3b, v40, -v100
	v_rndne_f32_e32 v117, v100
	s_delay_alu instid0(VALU_DEP_4) | instskip(NEXT) | instid1(VALU_DEP_4)
	v_mul_f32_e32 v107, 0x3fb8aa3b, v91
	v_dual_mul_f32 v93, v26, v7 :: v_dual_mul_f32 v108, 0x3fb8aa3b, v92
	v_mul_f32_e32 v94, v26, v8
	v_rndne_f32_e32 v119, v101
	v_rndne_f32_e32 v123, v103
	s_delay_alu instid0(VALU_DEP_4) | instskip(NEXT) | instid1(VALU_DEP_4)
	v_mul_f32_e32 v109, 0x3fb8aa3b, v93
	v_dual_mul_f32 v95, v26, v1 :: v_dual_mul_f32 v110, 0x3fb8aa3b, v94
	v_mul_f32_e32 v96, v26, v2
	v_fma_f32 v118, 0x3fb8aa3b, v41, -v101
	v_fma_f32 v122, 0x3fb8aa3b, v55, -v103
	s_delay_alu instid0(VALU_DEP_4) | instskip(NEXT) | instid1(VALU_DEP_4)
	v_mul_f32_e32 v111, 0x3fb8aa3b, v95
	v_dual_mul_f32 v97, v26, v3 :: v_dual_mul_f32 v112, 0x3fb8aa3b, v96
	v_dual_mul_f32 v98, v26, v4 :: v_dual_sub_f32 v99, v99, v115
	v_dual_fmac_f32 v116, 0x32a5705f, v40 :: v_dual_sub_f32 v101, v101, v119
	s_delay_alu instid0(VALU_DEP_2)
	v_dual_mul_f32 v113, 0x3fb8aa3b, v97 :: v_dual_mul_f32 v114, 0x3fb8aa3b, v98
	v_dual_sub_f32 v100, v100, v117 :: v_dual_sub_f32 v103, v103, v123
	v_fmac_f32_e32 v46, 0x32a5705f, v27
	v_fma_f32 v120, 0x3fb8aa3b, v54, -v102
	v_rndne_f32_e32 v121, v102
	v_rndne_f32_e32 v127, v105
	v_fmac_f32_e32 v118, 0x32a5705f, v41
	v_dual_add_f32 v46, v99, v46 :: v_dual_add_f32 v99, v100, v116
	v_fma_f32 v126, 0x3fb8aa3b, v89, -v105
	v_rndne_f32_e32 v131, v107
	v_rndne_f32_e32 v135, v109
	s_delay_alu instid0(VALU_DEP_4)
	v_exp_f32_e32 v46, v46
	v_fmac_f32_e32 v120, 0x32a5705f, v54
	v_dual_sub_f32 v102, v102, v121 :: v_dual_sub_f32 v105, v105, v127
	v_cvt_i32_f32_e32 v115, v115
	v_add_f32_e32 v100, v101, v118
	v_exp_f32_e32 v99, v99
	v_fma_f32 v124, 0x3fb8aa3b, v88, -v104
	v_rndne_f32_e32 v125, v104
	v_fma_f32 v130, 0x3fb8aa3b, v91, -v107
	v_fma_f32 v134, 0x3fb8aa3b, v93, -v109
	v_sub_f32_e32 v107, v107, v131
	v_sub_f32_e32 v109, v109, v135
	v_dual_fmac_f32 v122, 0x32a5705f, v55 :: v_dual_add_f32 v101, v102, v120
	v_cvt_i32_f32_e32 v117, v117
	v_exp_f32_e32 v100, v100
	v_ldexp_f32 v46, v46, v115
	v_cmp_ngt_f32_e64 s0, 0xc2ce8ed0, v27
	v_rndne_f32_e32 v139, v111
	v_rndne_f32_e32 v143, v113
	v_fmac_f32_e32 v124, 0x32a5705f, v88
	v_sub_f32_e32 v104, v104, v125
	v_cvt_i32_f32_e32 v119, v119
	v_add_f32_e32 v102, v103, v122
	v_exp_f32_e32 v101, v101
	v_ldexp_f32 v99, v99, v117
	v_cndmask_b32_e64 v46, 0, v46, s0
	v_cmp_ngt_f32_e64 s0, 0xc2ce8ed0, v40
	v_fma_f32 v128, 0x3fb8aa3b, v90, -v106
	v_rndne_f32_e32 v129, v106
	v_fma_f32 v132, 0x3fb8aa3b, v92, -v108
	v_rndne_f32_e32 v133, v108
	;; [unrolled: 2-line block ×3, first 2 shown]
	v_fma_f32 v138, 0x3fb8aa3b, v95, -v111
	v_fma_f32 v140, 0x3fb8aa3b, v96, -v112
	v_rndne_f32_e32 v141, v112
	v_fma_f32 v142, 0x3fb8aa3b, v97, -v113
	v_sub_f32_e32 v111, v111, v139
	v_dual_sub_f32 v113, v113, v143 :: v_dual_fmac_f32 v126, 0x32a5705f, v89
	v_add_f32_e32 v103, v104, v124
	v_cvt_i32_f32_e32 v121, v121
	v_exp_f32_e32 v102, v102
	v_ldexp_f32 v100, v100, v119
	v_cndmask_b32_e64 v99, 0, v99, s0
	v_cmp_ngt_f32_e64 s0, 0xc2ce8ed0, v41
	v_fmac_f32_e32 v132, 0x32a5705f, v92
	v_fmac_f32_e32 v136, 0x32a5705f, v94
	v_sub_f32_e32 v110, v110, v137
	v_sub_f32_e32 v108, v108, v133
	v_fmac_f32_e32 v128, 0x32a5705f, v90
	v_fmac_f32_e32 v140, 0x32a5705f, v96
	v_sub_f32_e32 v112, v112, v141
	v_sub_f32_e32 v106, v106, v129
	v_cvt_i32_f32_e32 v123, v123
	v_add_f32_e32 v104, v105, v126
	v_exp_f32_e32 v103, v103
	v_ldexp_f32 v101, v101, v121
	v_cndmask_b32_e64 v100, 0, v100, s0
	v_cmp_ngt_f32_e64 s0, 0xc2ce8ed0, v54
	v_dual_fmac_f32 v130, 0x32a5705f, v91 :: v_dual_add_f32 v105, v106, v128
	v_cvt_i32_f32_e32 v125, v125
	v_exp_f32_e32 v104, v104
	v_ldexp_f32 v102, v102, v123
	v_cndmask_b32_e64 v101, 0, v101, s0
	v_cmp_ngt_f32_e64 s0, 0xc2ce8ed0, v55
	v_fma_f32 v144, 0x3fb8aa3b, v98, -v114
	v_rndne_f32_e32 v145, v114
	v_cvt_i32_f32_e32 v127, v127
	v_add_f32_e32 v106, v107, v130
	v_exp_f32_e32 v105, v105
	v_ldexp_f32 v103, v103, v125
	v_cndmask_b32_e64 v102, 0, v102, s0
	v_cmp_ngt_f32_e64 s0, 0xc2ce8ed0, v88
	v_fmac_f32_e32 v144, 0x32a5705f, v98
	v_sub_f32_e32 v114, v114, v145
	v_fmac_f32_e32 v134, 0x32a5705f, v93
	v_cvt_i32_f32_e32 v129, v129
	v_add_f32_e32 v107, v108, v132
	v_exp_f32_e32 v106, v106
	v_ldexp_f32 v104, v104, v127
	v_cndmask_b32_e64 v103, 0, v103, s0
	v_cmp_ngt_f32_e64 s0, 0xc2ce8ed0, v89
	v_cvt_i32_f32_e32 v131, v131
	v_add_f32_e32 v108, v109, v134
	v_exp_f32_e32 v107, v107
	v_ldexp_f32 v105, v105, v129
	v_cndmask_b32_e64 v104, 0, v104, s0
	v_cmp_ngt_f32_e64 s0, 0xc2ce8ed0, v90
	v_fmac_f32_e32 v138, 0x32a5705f, v95
	v_cvt_i32_f32_e32 v133, v133
	v_add_f32_e32 v109, v110, v136
	v_exp_f32_e32 v108, v108
	v_ldexp_f32 v106, v106, v131
	v_cndmask_b32_e64 v105, 0, v105, s0
	v_cmp_ngt_f32_e64 s0, 0xc2ce8ed0, v91
	v_cvt_i32_f32_e32 v135, v135
	v_add_f32_e32 v110, v111, v138
	v_exp_f32_e32 v109, v109
	v_ldexp_f32 v107, v107, v133
	v_cndmask_b32_e64 v106, 0, v106, s0
	v_cmp_ngt_f32_e64 s0, 0xc2ce8ed0, v92
	;; [unrolled: 13-line block ×3, first 2 shown]
	v_cvt_i32_f32_e32 v141, v141
	v_exp_f32_e32 v112, v112
	v_ldexp_f32 v110, v110, v139
	v_cvt_i32_f32_e32 v143, v143
	v_cndmask_b32_e64 v109, 0, v109, s0
	v_cmp_ngt_f32_e64 s0, 0xc2ce8ed0, v95
	v_add_f32_e32 v113, v114, v144
	v_ldexp_f32 v111, v111, v141
	v_cvt_i32_f32_e32 v145, v145
	s_bfe_i64 s[46:47], s[42:43], 0x200000
	v_cndmask_b32_e64 v110, 0, v110, s0
	v_cmp_ngt_f32_e64 s0, 0xc2ce8ed0, v96
	v_exp_f32_e32 v113, v113
	v_ldexp_f32 v112, v112, v143
	s_mov_b32 s48, 0
	s_delay_alu instid0(VALU_DEP_2) | instskip(SKIP_1) | instid1(VALU_DEP_1)
	v_cndmask_b32_e64 v111, 0, v111, s0
	v_cmp_ngt_f32_e64 s0, 0xc2ce8ed0, v97
	v_cndmask_b32_e64 v112, 0, v112, s0
	v_cmp_nlt_f32_e64 s0, 0x42b17218, v27
	s_waitcnt_depctr 0xfff
	v_ldexp_f32 v113, v113, v145
	v_cndmask_b32_e64 v27, 0x7f800000, v46, s0
	v_cmp_ngt_f32_e64 s0, 0xc2ce8ed0, v98
	s_waitcnt vmcnt(0)
	v_mul_f32_e32 v114, v26, v28
	s_waitcnt lgkmcnt(7)
	s_delay_alu instid0(VALU_DEP_1) | instskip(SKIP_3) | instid1(VALU_DEP_4)
	v_mul_f32_e32 v26, v114, v56
	v_cndmask_b32_e64 v56, 0, v113, s0
	v_cmp_nlt_f32_e64 s0, 0x42b17218, v40
	v_mul_f32_e32 v46, v114, v57
	v_fmac_f32_e32 v26, v42, v27
	v_mul_f32_e32 v27, v114, v58
	s_delay_alu instid0(VALU_DEP_4) | instskip(SKIP_1) | instid1(VALU_DEP_2)
	v_cndmask_b32_e64 v28, 0x7f800000, v99, s0
	v_cmp_nlt_f32_e64 s0, 0x42b17218, v41
	v_fmac_f32_e32 v46, v53, v28
	s_delay_alu instid0(VALU_DEP_2) | instskip(SKIP_3) | instid1(VALU_DEP_3)
	v_cndmask_b32_e64 v40, 0x7f800000, v100, s0
	s_waitcnt lgkmcnt(3)
	v_fma_f32 v53, v72, v26, 0
	v_cmp_nlt_f32_e64 s0, 0x42b17218, v54
	v_dual_mul_f32 v28, v114, v59 :: v_dual_fmac_f32 v27, v29, v40
	s_delay_alu instid0(VALU_DEP_3) | instskip(NEXT) | instid1(VALU_DEP_3)
	v_fmac_f32_e32 v53, v73, v46
	v_cndmask_b32_e64 v41, 0x7f800000, v101, s0
	v_cmp_nlt_f32_e64 s0, 0x42b17218, v55
	v_mul_f32_e32 v29, v114, v60
	s_delay_alu instid0(VALU_DEP_4) | instskip(NEXT) | instid1(VALU_DEP_4)
	v_fmac_f32_e32 v53, v74, v27
	v_fmac_f32_e32 v28, v30, v41
	s_delay_alu instid0(VALU_DEP_4) | instskip(SKIP_1) | instid1(VALU_DEP_3)
	v_cndmask_b32_e64 v40, 0x7f800000, v102, s0
	v_cmp_nlt_f32_e64 s0, 0x42b17218, v88
	v_dual_mul_f32 v30, v114, v61 :: v_dual_fmac_f32 v53, v75, v28
	s_delay_alu instid0(VALU_DEP_3) | instskip(NEXT) | instid1(VALU_DEP_3)
	v_fmac_f32_e32 v29, v31, v40
	v_cndmask_b32_e64 v41, 0x7f800000, v103, s0
	v_cmp_nlt_f32_e64 s0, 0x42b17218, v89
	s_waitcnt lgkmcnt(2)
	s_delay_alu instid0(VALU_DEP_3) | instskip(NEXT) | instid1(VALU_DEP_3)
	v_fmac_f32_e32 v53, v76, v29
	v_fmac_f32_e32 v30, v32, v41
	s_delay_alu instid0(VALU_DEP_3) | instskip(SKIP_1) | instid1(VALU_DEP_3)
	v_cndmask_b32_e64 v40, 0x7f800000, v104, s0
	v_cmp_nlt_f32_e64 s0, 0x42b17218, v90
	v_fmac_f32_e32 v53, v77, v30
	v_mul_f32_e32 v31, v114, v62
	s_delay_alu instid0(VALU_DEP_3) | instskip(SKIP_2) | instid1(VALU_DEP_4)
	v_cndmask_b32_e64 v41, 0x7f800000, v105, s0
	v_cmp_nlt_f32_e64 s0, 0x42b17218, v91
	v_mul_f32_e32 v32, v114, v63
	v_dual_mul_f32 v42, v114, v66 :: v_dual_fmac_f32 v31, v25, v40
	v_mul_f32_e32 v40, v114, v64
	s_delay_alu instid0(VALU_DEP_4) | instskip(SKIP_3) | instid1(VALU_DEP_4)
	v_cndmask_b32_e64 v25, 0x7f800000, v106, s0
	v_cmp_nlt_f32_e64 s0, 0x42b17218, v92
	v_fmac_f32_e32 v32, v43, v41
	v_mul_f32_e32 v41, v114, v65
	v_dual_fmac_f32 v53, v78, v31 :: v_dual_fmac_f32 v40, v44, v25
	s_delay_alu instid0(VALU_DEP_4) | instskip(SKIP_1) | instid1(VALU_DEP_2)
	v_cndmask_b32_e64 v43, 0x7f800000, v107, s0
	v_cmp_nlt_f32_e64 s0, 0x42b17218, v93
	v_dual_mul_f32 v44, v114, v68 :: v_dual_fmac_f32 v41, v45, v43
	s_delay_alu instid0(VALU_DEP_2) | instskip(SKIP_1) | instid1(VALU_DEP_2)
	v_cndmask_b32_e64 v25, 0x7f800000, v108, s0
	v_cmp_nlt_f32_e64 s0, 0x42b17218, v94
	v_dual_mul_f32 v43, v114, v67 :: v_dual_fmac_f32 v42, v47, v25
	s_delay_alu instid0(VALU_DEP_2) | instskip(SKIP_3) | instid1(VALU_DEP_4)
	v_cndmask_b32_e64 v45, 0x7f800000, v109, s0
	v_cmp_nlt_f32_e64 s0, 0x42b17218, v95
	v_mul_f32_e32 v47, v114, v70
	v_fmac_f32_e32 v53, v79, v32
	v_fmac_f32_e32 v43, v49, v45
	s_delay_alu instid0(VALU_DEP_4) | instskip(SKIP_2) | instid1(VALU_DEP_3)
	v_cndmask_b32_e64 v25, 0x7f800000, v110, s0
	v_cmp_nlt_f32_e64 s0, 0x42b17218, v96
	v_mul_f32_e32 v45, v114, v69
	v_fmac_f32_e32 v44, v50, v25
	v_mul_f32_e32 v25, v114, v71
	s_waitcnt lgkmcnt(1)
	v_fmac_f32_e32 v53, v80, v40
	v_cndmask_b32_e64 v49, 0x7f800000, v111, s0
	v_cmp_nlt_f32_e64 s0, 0x42b17218, v97
	s_delay_alu instid0(VALU_DEP_3) | instskip(NEXT) | instid1(VALU_DEP_3)
	v_fmac_f32_e32 v53, v81, v41
	v_fmac_f32_e32 v45, v51, v49
	s_delay_alu instid0(VALU_DEP_3) | instskip(SKIP_1) | instid1(VALU_DEP_4)
	v_cndmask_b32_e64 v50, 0x7f800000, v112, s0
	v_cmp_nlt_f32_e64 s0, 0x42b17218, v98
	v_fmac_f32_e32 v53, v82, v42
	s_delay_alu instid0(VALU_DEP_3) | instskip(NEXT) | instid1(VALU_DEP_3)
	v_fmac_f32_e32 v47, v52, v50
	v_cndmask_b32_e64 v49, 0x7f800000, v56, s0
	s_lshl_b64 s[0:1], s[46:47], 2
	s_delay_alu instid0(VALU_DEP_3) | instskip(NEXT) | instid1(VALU_DEP_2)
	v_fmac_f32_e32 v53, v83, v43
	v_fmac_f32_e32 v25, v48, v49
	v_add_co_u32 v48, s0, v17, s0
	s_waitcnt lgkmcnt(0)
	s_delay_alu instid0(VALU_DEP_3) | instskip(SKIP_1) | instid1(VALU_DEP_2)
	v_fmac_f32_e32 v53, v84, v44
	v_add_co_ci_u32_e64 v49, s0, s1, v18, s0
	v_fmac_f32_e32 v53, v85, v45
	s_delay_alu instid0(VALU_DEP_1) | instskip(NEXT) | instid1(VALU_DEP_1)
	v_fmac_f32_e32 v53, v86, v47
	v_fmac_f32_e32 v53, v87, v25
	global_store_b32 v[48:49], v53, off
	s_waitcnt_vscnt null, 0x0
	s_barrier
	buffer_gl0_inv
	s_and_saveexec_b32 s1, vcc_lo
	s_cbranch_execz .LBB5_10
; %bb.9:
	s_lshl_b64 s[4:5], s[34:35], 3
	s_delay_alu instid0(SALU_CYCLE_1) | instskip(NEXT) | instid1(VALU_DEP_1)
	v_add_co_u32 v48, s0, v35, s4
	v_add_co_ci_u32_e64 v49, s0, s5, v36, s0
	s_lshl_b64 s[4:5], s[36:37], 3
	s_delay_alu instid0(SALU_CYCLE_1) | instskip(NEXT) | instid1(VALU_DEP_1)
	v_add_co_u32 v50, s0, v37, s4
	v_add_co_ci_u32_e64 v51, s0, s5, v38, s0
	global_load_b32 v48, v[48:49], off
	global_load_b32 v49, v[50:51], off
	s_waitcnt vmcnt(1)
	ds_store_b32 v39, v48
	s_waitcnt vmcnt(0)
	ds_store_b32 v0, v49
.LBB5_10:
	s_or_b32 exec_lo, exec_lo, s1
	v_add_co_u32 v21, s0, v21, s44
	s_delay_alu instid0(VALU_DEP_1)
	v_add_co_ci_u32_e64 v22, s0, s45, v22, s0
	s_waitcnt lgkmcnt(0)
	s_barrier
	buffer_gl0_inv
	global_load_b32 v48, v[21:22], off
	s_mov_b32 s49, s42
	s_mov_b32 s4, exec_lo
	s_waitcnt vmcnt(0)
	v_cmpx_ge_f32_e32 0x41a00000, v48
	s_cbranch_execz .LBB5_12
; %bb.11:
	v_mul_f32_e32 v49, 0x3fb8aa3b, v48
	v_cmp_ngt_f32_e64 s0, 0xc2ce8ed0, v48
	s_delay_alu instid0(VALU_DEP_2) | instskip(SKIP_1) | instid1(VALU_DEP_2)
	v_rndne_f32_e32 v50, v49
	v_fma_f32 v51, 0x3fb8aa3b, v48, -v49
	v_sub_f32_e32 v49, v49, v50
	s_delay_alu instid0(VALU_DEP_2) | instskip(SKIP_1) | instid1(VALU_DEP_2)
	v_fmamk_f32 v51, v48, 0x32a5705f, v51
	v_cvt_i32_f32_e32 v50, v50
	v_add_f32_e32 v49, v49, v51
	s_delay_alu instid0(VALU_DEP_1) | instskip(SKIP_2) | instid1(VALU_DEP_1)
	v_exp_f32_e32 v49, v49
	s_waitcnt_depctr 0xfff
	v_ldexp_f32 v49, v49, v50
	v_cndmask_b32_e64 v49, 0, v49, s0
	v_cmp_nlt_f32_e64 s0, 0x42b17218, v48
	s_delay_alu instid0(VALU_DEP_1) | instskip(NEXT) | instid1(VALU_DEP_1)
	v_cndmask_b32_e64 v50, 0x7f800000, v49, s0
	v_add_f32_e32 v51, 1.0, v50
	v_cmp_gt_f32_e64 s1, 0x33800000, v50
	s_delay_alu instid0(VALU_DEP_2) | instskip(NEXT) | instid1(VALU_DEP_1)
	v_cvt_f64_f32_e32 v[48:49], v51
	v_frexp_exp_i32_f64_e32 v48, v[48:49]
	v_frexp_mant_f32_e32 v49, v51
	s_delay_alu instid0(VALU_DEP_1) | instskip(SKIP_1) | instid1(VALU_DEP_1)
	v_cmp_gt_f32_e64 s0, 0x3f2aaaab, v49
	v_add_f32_e32 v49, -1.0, v51
	v_sub_f32_e32 v53, v49, v51
	v_sub_f32_e32 v49, v50, v49
	s_delay_alu instid0(VALU_DEP_2) | instskip(NEXT) | instid1(VALU_DEP_1)
	v_add_f32_e32 v53, 1.0, v53
	v_add_f32_e32 v49, v49, v53
	v_subrev_co_ci_u32_e64 v48, s0, 0, v48, s0
	s_mov_b32 s0, 0x3e9b6dac
	s_delay_alu instid0(VALU_DEP_1) | instskip(SKIP_1) | instid1(VALU_DEP_2)
	v_sub_nc_u32_e32 v52, 0, v48
	v_cvt_f32_i32_e32 v48, v48
	v_ldexp_f32 v51, v51, v52
	v_ldexp_f32 v49, v49, v52
	s_delay_alu instid0(VALU_DEP_2) | instskip(NEXT) | instid1(VALU_DEP_1)
	v_add_f32_e32 v54, 1.0, v51
	v_dual_add_f32 v52, -1.0, v51 :: v_dual_add_f32 v53, -1.0, v54
	s_delay_alu instid0(VALU_DEP_1) | instskip(NEXT) | instid1(VALU_DEP_2)
	v_add_f32_e32 v55, 1.0, v52
	v_sub_f32_e32 v53, v51, v53
	s_delay_alu instid0(VALU_DEP_2) | instskip(NEXT) | instid1(VALU_DEP_2)
	v_sub_f32_e32 v51, v51, v55
	v_add_f32_e32 v53, v49, v53
	s_delay_alu instid0(VALU_DEP_1) | instskip(NEXT) | instid1(VALU_DEP_3)
	v_add_f32_e32 v55, v54, v53
	v_add_f32_e32 v49, v49, v51
	s_delay_alu instid0(VALU_DEP_2) | instskip(NEXT) | instid1(VALU_DEP_1)
	v_rcp_f32_e32 v51, v55
	v_add_f32_e32 v56, v52, v49
	v_sub_f32_e32 v54, v54, v55
	s_delay_alu instid0(VALU_DEP_1) | instskip(SKIP_2) | instid1(VALU_DEP_1)
	v_dual_sub_f32 v52, v52, v56 :: v_dual_add_f32 v53, v53, v54
	s_waitcnt_depctr 0xfff
	v_mul_f32_e32 v57, v56, v51
	v_dual_add_f32 v49, v49, v52 :: v_dual_mul_f32 v58, v55, v57
	s_delay_alu instid0(VALU_DEP_1) | instskip(NEXT) | instid1(VALU_DEP_1)
	v_fma_f32 v54, v57, v55, -v58
	v_fmac_f32_e32 v54, v57, v53
	s_delay_alu instid0(VALU_DEP_1) | instskip(NEXT) | instid1(VALU_DEP_1)
	v_add_f32_e32 v59, v58, v54
	v_sub_f32_e32 v60, v56, v59
	v_sub_f32_e32 v52, v59, v58
	s_delay_alu instid0(VALU_DEP_2) | instskip(NEXT) | instid1(VALU_DEP_2)
	v_sub_f32_e32 v56, v56, v60
	v_sub_f32_e32 v52, v52, v54
	s_delay_alu instid0(VALU_DEP_2) | instskip(NEXT) | instid1(VALU_DEP_1)
	v_sub_f32_e32 v56, v56, v59
	v_add_f32_e32 v49, v49, v56
	s_delay_alu instid0(VALU_DEP_1) | instskip(NEXT) | instid1(VALU_DEP_1)
	v_add_f32_e32 v49, v52, v49
	v_add_f32_e32 v52, v60, v49
	s_delay_alu instid0(VALU_DEP_1) | instskip(NEXT) | instid1(VALU_DEP_1)
	v_mul_f32_e32 v54, v51, v52
	v_dual_sub_f32 v59, v60, v52 :: v_dual_mul_f32 v56, v55, v54
	s_delay_alu instid0(VALU_DEP_1) | instskip(NEXT) | instid1(VALU_DEP_2)
	v_add_f32_e32 v49, v49, v59
	v_fma_f32 v55, v54, v55, -v56
	s_delay_alu instid0(VALU_DEP_1) | instskip(NEXT) | instid1(VALU_DEP_1)
	v_fmac_f32_e32 v55, v54, v53
	v_add_f32_e32 v53, v56, v55
	s_delay_alu instid0(VALU_DEP_1) | instskip(SKIP_1) | instid1(VALU_DEP_2)
	v_sub_f32_e32 v58, v52, v53
	v_sub_f32_e32 v56, v53, v56
	;; [unrolled: 1-line block ×3, first 2 shown]
	s_delay_alu instid0(VALU_DEP_1) | instskip(NEXT) | instid1(VALU_DEP_3)
	v_sub_f32_e32 v52, v52, v53
	v_sub_f32_e32 v53, v56, v55
	s_delay_alu instid0(VALU_DEP_2) | instskip(SKIP_1) | instid1(VALU_DEP_2)
	v_add_f32_e32 v49, v49, v52
	v_add_f32_e32 v52, v57, v54
	;; [unrolled: 1-line block ×3, first 2 shown]
	s_delay_alu instid0(VALU_DEP_2) | instskip(NEXT) | instid1(VALU_DEP_2)
	v_sub_f32_e32 v53, v52, v57
	v_add_f32_e32 v49, v58, v49
	s_delay_alu instid0(VALU_DEP_2) | instskip(NEXT) | instid1(VALU_DEP_2)
	v_sub_f32_e32 v53, v54, v53
	v_mul_f32_e32 v49, v51, v49
	s_delay_alu instid0(VALU_DEP_1) | instskip(NEXT) | instid1(VALU_DEP_1)
	v_add_f32_e32 v49, v53, v49
	v_add_f32_e32 v51, v52, v49
	s_delay_alu instid0(VALU_DEP_1) | instskip(NEXT) | instid1(VALU_DEP_1)
	v_mul_f32_e32 v53, v51, v51
	v_fmaak_f32 v54, s0, v53, 0x3ecc95a3
	v_mul_f32_e32 v55, v51, v53
	v_cmp_eq_f32_e64 s0, 0x7f800000, v50
	s_delay_alu instid0(VALU_DEP_3) | instskip(SKIP_2) | instid1(VALU_DEP_4)
	v_fmaak_f32 v53, v53, v54, 0x3f2aaada
	v_ldexp_f32 v54, v51, 1
	v_sub_f32_e32 v51, v51, v52
	s_or_b32 s0, s1, s0
	s_delay_alu instid0(VALU_DEP_3) | instskip(SKIP_1) | instid1(VALU_DEP_2)
	v_mul_f32_e32 v53, v55, v53
	v_mul_f32_e32 v55, 0x3f317218, v48
	v_dual_sub_f32 v49, v49, v51 :: v_dual_add_f32 v52, v54, v53
	s_delay_alu instid0(VALU_DEP_1) | instskip(NEXT) | instid1(VALU_DEP_2)
	v_ldexp_f32 v49, v49, 1
	v_sub_f32_e32 v51, v52, v54
	s_delay_alu instid0(VALU_DEP_4) | instskip(NEXT) | instid1(VALU_DEP_1)
	v_fma_f32 v54, 0x3f317218, v48, -v55
	v_dual_sub_f32 v51, v53, v51 :: v_dual_fmamk_f32 v48, v48, 0xb102e308, v54
	s_delay_alu instid0(VALU_DEP_1) | instskip(NEXT) | instid1(VALU_DEP_2)
	v_add_f32_e32 v49, v49, v51
	v_add_f32_e32 v51, v55, v48
	s_delay_alu instid0(VALU_DEP_2) | instskip(NEXT) | instid1(VALU_DEP_2)
	v_add_f32_e32 v53, v52, v49
	v_sub_f32_e32 v55, v51, v55
	s_delay_alu instid0(VALU_DEP_2) | instskip(SKIP_1) | instid1(VALU_DEP_3)
	v_add_f32_e32 v54, v51, v53
	v_sub_f32_e32 v52, v53, v52
	v_sub_f32_e32 v48, v48, v55
	s_delay_alu instid0(VALU_DEP_2) | instskip(NEXT) | instid1(VALU_DEP_1)
	v_dual_sub_f32 v56, v54, v51 :: v_dual_sub_f32 v49, v49, v52
	v_sub_f32_e32 v57, v54, v56
	s_delay_alu instid0(VALU_DEP_2) | instskip(NEXT) | instid1(VALU_DEP_2)
	v_dual_sub_f32 v52, v53, v56 :: v_dual_add_f32 v53, v48, v49
	v_sub_f32_e32 v51, v51, v57
	s_delay_alu instid0(VALU_DEP_1) | instskip(NEXT) | instid1(VALU_DEP_1)
	v_dual_add_f32 v51, v52, v51 :: v_dual_sub_f32 v52, v53, v48
	v_add_f32_e32 v51, v53, v51
	s_delay_alu instid0(VALU_DEP_2) | instskip(SKIP_1) | instid1(VALU_DEP_2)
	v_sub_f32_e32 v53, v53, v52
	v_sub_f32_e32 v49, v49, v52
	v_dual_add_f32 v55, v54, v51 :: v_dual_sub_f32 v48, v48, v53
	s_delay_alu instid0(VALU_DEP_1) | instskip(NEXT) | instid1(VALU_DEP_2)
	v_sub_f32_e32 v52, v55, v54
	v_add_f32_e32 v48, v49, v48
	s_delay_alu instid0(VALU_DEP_2) | instskip(NEXT) | instid1(VALU_DEP_1)
	v_sub_f32_e32 v49, v51, v52
	v_add_f32_e32 v48, v48, v49
	s_delay_alu instid0(VALU_DEP_1) | instskip(NEXT) | instid1(VALU_DEP_1)
	v_add_f32_e32 v48, v55, v48
	v_cndmask_b32_e64 v48, v48, v50, s0
.LBB5_12:
	s_or_b32 exec_lo, exec_lo, s4
	v_add_co_u32 v23, s0, v23, s2
	s_delay_alu instid0(VALU_DEP_1)
	v_add_co_ci_u32_e64 v24, s0, s3, v24, s0
	v_mov_b32_e32 v81, 0
	global_load_b32 v23, v[23:24], off
	v_mul_f32_e32 v24, v48, v13
	v_mul_f32_e32 v49, v48, v14
	ds_load_b128 v[53:56], v81
	ds_load_b128 v[57:60], v81 offset:16
	ds_load_b128 v[61:64], v81 offset:32
	;; [unrolled: 1-line block ×7, first 2 shown]
	v_mul_f32_e32 v96, 0x3fb8aa3b, v24
	v_dual_mul_f32 v50, v48, v15 :: v_dual_mul_f32 v97, 0x3fb8aa3b, v49
	v_mul_f32_e32 v51, v48, v16
	v_cmp_ngt_f32_e64 s16, 0xc2ce8ed0, v24
	s_delay_alu instid0(VALU_DEP_4) | instskip(NEXT) | instid1(VALU_DEP_4)
	v_fma_f32 v112, 0x3fb8aa3b, v24, -v96
	v_mul_f32_e32 v98, 0x3fb8aa3b, v50
	s_delay_alu instid0(VALU_DEP_4) | instskip(SKIP_3) | instid1(VALU_DEP_4)
	v_dual_mul_f32 v52, v48, v9 :: v_dual_mul_f32 v99, 0x3fb8aa3b, v51
	v_mul_f32_e32 v85, v48, v10
	v_rndne_f32_e32 v113, v96
	v_cmp_nlt_f32_e64 s17, 0x42b17218, v24
	v_mul_f32_e32 v100, 0x3fb8aa3b, v52
	s_delay_alu instid0(VALU_DEP_4) | instskip(SKIP_3) | instid1(VALU_DEP_4)
	v_dual_mul_f32 v86, v48, v11 :: v_dual_mul_f32 v101, 0x3fb8aa3b, v85
	v_mul_f32_e32 v87, v48, v12
	v_fma_f32 v114, 0x3fb8aa3b, v49, -v97
	v_rndne_f32_e32 v115, v97
	v_mul_f32_e32 v102, 0x3fb8aa3b, v86
	s_delay_alu instid0(VALU_DEP_4) | instskip(SKIP_2) | instid1(VALU_DEP_3)
	v_dual_mul_f32 v88, v48, v5 :: v_dual_mul_f32 v103, 0x3fb8aa3b, v87
	v_dual_mul_f32 v89, v48, v6 :: v_dual_fmac_f32 v112, 0x32a5705f, v24
	v_cmp_ngt_f32_e64 s15, 0xc2ce8ed0, v49
	v_mul_f32_e32 v104, 0x3fb8aa3b, v88
	s_delay_alu instid0(VALU_DEP_3) | instskip(SKIP_3) | instid1(VALU_DEP_4)
	v_dual_mul_f32 v90, v48, v7 :: v_dual_mul_f32 v105, 0x3fb8aa3b, v89
	v_mul_f32_e32 v91, v48, v8
	v_cmp_nlt_f32_e64 s18, 0x42b17218, v49
	v_fma_f32 v118, 0x3fb8aa3b, v51, -v99
	v_mul_f32_e32 v106, 0x3fb8aa3b, v90
	s_delay_alu instid0(VALU_DEP_4) | instskip(SKIP_2) | instid1(VALU_DEP_4)
	v_dual_mul_f32 v92, v48, v1 :: v_dual_mul_f32 v107, 0x3fb8aa3b, v91
	v_mul_f32_e32 v93, v48, v2
	v_sub_f32_e32 v24, v96, v113
	v_fma_f32 v132, 0x3fb8aa3b, v90, -v106
	s_delay_alu instid0(VALU_DEP_4) | instskip(NEXT) | instid1(VALU_DEP_4)
	v_mul_f32_e32 v108, 0x3fb8aa3b, v92
	v_dual_mul_f32 v94, v48, v3 :: v_dual_mul_f32 v109, 0x3fb8aa3b, v93
	v_mul_f32_e32 v95, v48, v4
	v_rndne_f32_e32 v119, v99
	v_fmac_f32_e32 v114, 0x32a5705f, v49
	s_delay_alu instid0(VALU_DEP_4) | instskip(NEXT) | instid1(VALU_DEP_4)
	v_dual_mul_f32 v110, 0x3fb8aa3b, v94 :: v_dual_sub_f32 v49, v97, v115
	v_mul_f32_e32 v111, 0x3fb8aa3b, v95
	v_fmac_f32_e32 v132, 0x32a5705f, v90
	v_cmp_ngt_f32_e64 s12, 0xc2ce8ed0, v51
	v_cmp_nlt_f32_e64 s20, 0x42b17218, v51
	v_fma_f32 v120, 0x3fb8aa3b, v52, -v100
	v_rndne_f32_e32 v121, v100
	v_fma_f32 v124, 0x3fb8aa3b, v86, -v102
	v_rndne_f32_e32 v125, v102
	;; [unrolled: 2-line block ×3, first 2 shown]
	v_fmac_f32_e32 v118, 0x32a5705f, v51
	v_sub_f32_e32 v51, v99, v119
	v_add_f32_e32 v49, v49, v114
	v_cmp_ngt_f32_e64 s11, 0xc2ce8ed0, v52
	v_cmp_ngt_f32_e64 s9, 0xc2ce8ed0, v86
	;; [unrolled: 1-line block ×3, first 2 shown]
	v_cmp_nlt_f32_e64 s21, 0x42b17218, v52
	v_cmp_nlt_f32_e64 s23, 0x42b17218, v86
	;; [unrolled: 1-line block ×3, first 2 shown]
	v_fma_f32 v130, 0x3fb8aa3b, v89, -v105
	v_rndne_f32_e32 v131, v105
	v_fma_f32 v134, 0x3fb8aa3b, v91, -v107
	v_rndne_f32_e32 v135, v107
	v_cvt_i32_f32_e32 v96, v113
	v_fmac_f32_e32 v120, 0x32a5705f, v52
	v_sub_f32_e32 v52, v100, v121
	v_fmac_f32_e32 v124, 0x32a5705f, v86
	v_dual_sub_f32 v86, v102, v125 :: v_dual_add_f32 v51, v51, v118
	v_exp_f32_e32 v49, v49
	v_cmp_ngt_f32_e64 s6, 0xc2ce8ed0, v89
	v_cmp_ngt_f32_e64 s4, 0xc2ce8ed0, v91
	v_cmp_nlt_f32_e64 s26, 0x42b17218, v89
	v_cmp_nlt_f32_e64 s28, 0x42b17218, v91
	v_cvt_i32_f32_e32 v97, v115
	v_exp_f32_e32 v51, v51
	v_cvt_i32_f32_e32 v99, v119
	v_fma_f32 v136, 0x3fb8aa3b, v92, -v108
	v_cvt_i32_f32_e32 v100, v121
	v_ldexp_f32 v49, v49, v97
	v_fma_f32 v116, 0x3fb8aa3b, v50, -v98
	v_rndne_f32_e32 v117, v98
	v_rndne_f32_e32 v137, v108
	v_cmp_ngt_f32_e64 s13, 0xc2ce8ed0, v50
	v_cndmask_b32_e64 v49, 0, v49, s15
	v_ldexp_f32 v51, v51, v99
	v_cmp_ngt_f32_e64 s3, 0xc2ce8ed0, v92
	v_cmp_nlt_f32_e64 s19, 0x42b17218, v50
	v_cmp_nlt_f32_e64 s29, 0x42b17218, v92
	v_fma_f32 v122, 0x3fb8aa3b, v85, -v101
	v_rndne_f32_e32 v123, v101
	v_fma_f32 v126, 0x3fb8aa3b, v87, -v103
	v_rndne_f32_e32 v127, v103
	;; [unrolled: 2-line block ×3, first 2 shown]
	v_fma_f32 v140, 0x3fb8aa3b, v94, -v110
	v_fmac_f32_e32 v116, 0x32a5705f, v50
	v_sub_f32_e32 v50, v98, v117
	v_cmp_ngt_f32_e64 s10, 0xc2ce8ed0, v85
	v_cmp_ngt_f32_e64 s8, 0xc2ce8ed0, v87
	;; [unrolled: 1-line block ×3, first 2 shown]
	v_cmp_nlt_f32_e64 s22, 0x42b17218, v85
	v_cmp_nlt_f32_e64 s24, 0x42b17218, v87
	;; [unrolled: 1-line block ×3, first 2 shown]
	v_dual_fmac_f32 v122, 0x32a5705f, v85 :: v_dual_sub_f32 v85, v101, v123
	v_cvt_i32_f32_e32 v98, v117
	v_cvt_i32_f32_e32 v101, v123
	;; [unrolled: 1-line block ×3, first 2 shown]
	v_rndne_f32_e32 v141, v110
	v_cmp_ngt_f32_e64 s0, 0xc2ce8ed0, v94
	v_cmp_nlt_f32_e64 s31, 0x42b17218, v94
	v_fma_f32 v128, 0x3fb8aa3b, v88, -v104
	v_rndne_f32_e32 v129, v104
	v_cmp_ngt_f32_e64 s7, 0xc2ce8ed0, v88
	v_cmp_nlt_f32_e64 s25, 0x42b17218, v88
	v_rndne_f32_e32 v133, v106
	v_cmp_ngt_f32_e64 s5, 0xc2ce8ed0, v90
	v_cmp_nlt_f32_e64 s27, 0x42b17218, v90
	s_waitcnt vmcnt(0)
	v_mul_f32_e32 v23, v48, v23
	v_add_f32_e32 v24, v24, v112
	v_fmac_f32_e32 v142, 0x32a5705f, v95
	v_sub_f32_e32 v95, v111, v143
	v_fmac_f32_e32 v134, 0x32a5705f, v91
	v_sub_f32_e32 v91, v107, v135
	v_exp_f32_e32 v24, v24
	v_cvt_i32_f32_e32 v111, v143
	v_dual_add_f32 v95, v95, v142 :: v_dual_fmac_f32 v130, 0x32a5705f, v89
	s_delay_alu instid0(VALU_DEP_3) | instskip(SKIP_1) | instid1(VALU_DEP_3)
	v_add_f32_e32 v91, v91, v134
	v_dual_sub_f32 v89, v105, v131 :: v_dual_add_f32 v52, v52, v120
	v_exp_f32_e32 v95, v95
	s_waitcnt lgkmcnt(7)
	v_mul_f32_e32 v48, v23, v53
	v_fmac_f32_e32 v136, 0x32a5705f, v92
	s_delay_alu instid0(TRANS32_DEP_2)
	v_ldexp_f32 v24, v24, v96
	v_exp_f32_e32 v52, v52
	v_add_f32_e32 v86, v86, v124
	v_cvt_i32_f32_e32 v105, v131
	v_exp_f32_e32 v91, v91
	v_cndmask_b32_e64 v24, 0, v24, s16
	v_cvt_i32_f32_e32 v107, v135
	v_ldexp_f32 v53, v95, v111
	v_cndmask_b32_e64 v95, 0x7f800000, v49, s18
	v_mul_f32_e32 v49, v23, v54
	v_cndmask_b32_e64 v24, 0x7f800000, v24, s17
	v_ldexp_f32 v52, v52, v100
	v_sub_f32_e32 v92, v108, v137
	v_exp_f32_e32 v86, v86
	v_fmac_f32_e32 v49, v46, v95
	v_fmac_f32_e32 v48, v26, v24
	v_cndmask_b32_e64 v26, 0, v51, s12
	v_cndmask_b32_e64 v46, 0, v52, s11
	v_mul_f32_e32 v24, v23, v55
	v_cvt_i32_f32_e32 v108, v137
	s_waitcnt lgkmcnt(3)
	v_fma_f32 v51, v69, v48, 0
	v_cndmask_b32_e64 v52, 0x7f800000, v26, s20
	v_mul_f32_e32 v26, v23, v56
	v_fmac_f32_e32 v140, 0x32a5705f, v94
	v_ldexp_f32 v86, v86, v102
	v_fmac_f32_e32 v51, v70, v49
	v_dual_fmac_f32 v138, 0x32a5705f, v93 :: v_dual_sub_f32 v93, v109, v139
	v_dual_fmac_f32 v126, 0x32a5705f, v87 :: v_dual_add_f32 v85, v85, v122
	v_dual_sub_f32 v87, v103, v127 :: v_dual_fmac_f32 v26, v28, v52
	v_add_f32_e32 v50, v50, v116
	v_cndmask_b32_e64 v46, 0x7f800000, v46, s21
	s_delay_alu instid0(VALU_DEP_4)
	v_exp_f32_e32 v85, v85
	v_cndmask_b32_e64 v52, 0, v86, s9
	v_mul_f32_e32 v28, v23, v58
	v_exp_f32_e32 v50, v50
	v_dual_fmac_f32 v128, 0x32a5705f, v88 :: v_dual_add_f32 v87, v87, v126
	v_dual_sub_f32 v88, v104, v129 :: v_dual_add_f32 v89, v89, v130
	v_cndmask_b32_e64 v52, 0x7f800000, v52, s23
	v_cvt_i32_f32_e32 v103, v127
	s_delay_alu instid0(TRANS32_DEP_2) | instskip(SKIP_2) | instid1(TRANS32_DEP_3)
	v_ldexp_f32 v85, v85, v101
	v_exp_f32_e32 v87, v87
	v_exp_f32_e32 v89, v89
	v_ldexp_f32 v50, v50, v98
	v_cvt_i32_f32_e32 v104, v129
	v_ldexp_f32 v91, v91, v107
	v_cvt_i32_f32_e32 v109, v139
	s_delay_alu instid0(VALU_DEP_4) | instskip(NEXT) | instid1(TRANS32_DEP_2)
	v_cndmask_b32_e64 v50, 0, v50, s13
	v_ldexp_f32 v87, v87, v103
	s_delay_alu instid0(TRANS32_DEP_1) | instskip(NEXT) | instid1(VALU_DEP_3)
	v_ldexp_f32 v89, v89, v105
	v_cndmask_b32_e64 v50, 0x7f800000, v50, s19
	s_delay_alu instid0(VALU_DEP_1)
	v_fmac_f32_e32 v24, v27, v50
	v_cndmask_b32_e64 v50, 0, v85, s10
	v_mul_f32_e32 v27, v23, v57
	v_sub_f32_e32 v94, v110, v141
	v_cvt_i32_f32_e32 v110, v141
	v_fmac_f32_e32 v51, v71, v24
	v_cndmask_b32_e64 v50, 0x7f800000, v50, s22
	v_fmac_f32_e32 v27, v29, v46
	v_mul_f32_e32 v29, v23, v59
	v_cndmask_b32_e64 v46, 0, v87, s8
	v_fmac_f32_e32 v51, v72, v26
	v_fmac_f32_e32 v28, v30, v50
	v_dual_sub_f32 v90, v106, v133 :: v_dual_add_f32 v93, v93, v138
	v_fmac_f32_e32 v29, v31, v52
	s_waitcnt lgkmcnt(2)
	v_fmac_f32_e32 v51, v73, v27
	v_cndmask_b32_e64 v46, 0x7f800000, v46, s24
	v_mul_f32_e32 v30, v23, v60
	v_cndmask_b32_e64 v52, 0, v89, s6
	v_mul_f32_e32 v31, v23, v61
	v_fmac_f32_e32 v51, v74, v28
	v_add_f32_e32 v88, v88, v128
	v_fmac_f32_e32 v30, v32, v46
	v_cndmask_b32_e64 v52, 0x7f800000, v52, s26
	v_mul_f32_e32 v32, v23, v62
	v_fmac_f32_e32 v51, v75, v29
	v_exp_f32_e32 v88, v88
	v_cvt_i32_f32_e32 v106, v133
	v_exp_f32_e32 v93, v93
	v_fmac_f32_e32 v32, v41, v52
	v_mul_f32_e32 v41, v23, v64
	v_dual_add_f32 v94, v94, v140 :: v_dual_fmac_f32 v51, v76, v30
	s_waitcnt_depctr 0xfff
	v_ldexp_f32 v88, v88, v104
	v_exp_f32_e32 v94, v94
	v_ldexp_f32 v93, v93, v109
	s_delay_alu instid0(VALU_DEP_2) | instskip(NEXT) | instid1(VALU_DEP_1)
	v_cndmask_b32_e64 v50, 0, v88, s7
	v_cndmask_b32_e64 v50, 0x7f800000, v50, s25
	v_add_f32_e32 v90, v90, v132
	s_waitcnt_depctr 0xfff
	v_ldexp_f32 v94, v94, v110
	v_fmac_f32_e32 v31, v40, v50
	v_add_f32_e32 v92, v92, v136
	v_exp_f32_e32 v90, v90
	v_cndmask_b32_e64 v50, 0, v91, s4
	v_mul_f32_e32 v40, v23, v63
	s_waitcnt lgkmcnt(1)
	v_fmac_f32_e32 v51, v77, v31
	v_exp_f32_e32 v92, v92
	v_cndmask_b32_e64 v50, 0x7f800000, v50, s28
	s_delay_alu instid0(VALU_DEP_2) | instskip(NEXT) | instid1(TRANS32_DEP_2)
	v_fmac_f32_e32 v51, v78, v32
	v_ldexp_f32 v90, v90, v106
	s_delay_alu instid0(VALU_DEP_3) | instskip(SKIP_2) | instid1(TRANS32_DEP_1)
	v_fmac_f32_e32 v41, v43, v50
	v_mul_f32_e32 v43, v23, v66
	v_cndmask_b32_e64 v50, 0, v94, s0
	v_ldexp_f32 v92, v92, v108
	v_cndmask_b32_e64 v46, 0, v90, s5
	s_delay_alu instid0(VALU_DEP_3) | instskip(NEXT) | instid1(VALU_DEP_3)
	v_cndmask_b32_e64 v50, 0x7f800000, v50, s31
	v_cndmask_b32_e64 v52, 0, v92, s3
	s_delay_alu instid0(VALU_DEP_3) | instskip(NEXT) | instid1(VALU_DEP_2)
	v_cndmask_b32_e64 v46, 0x7f800000, v46, s27
	v_cndmask_b32_e64 v52, 0x7f800000, v52, s29
	s_delay_alu instid0(VALU_DEP_2) | instskip(SKIP_2) | instid1(VALU_DEP_2)
	v_fmac_f32_e32 v40, v42, v46
	v_mul_f32_e32 v42, v23, v65
	v_cndmask_b32_e64 v46, 0, v93, s2
	v_fmac_f32_e32 v42, v44, v52
	v_mul_f32_e32 v44, v23, v67
	v_mul_f32_e32 v23, v23, v68
	v_fmac_f32_e32 v51, v79, v40
	v_cndmask_b32_e64 v46, 0x7f800000, v46, s30
	v_cndmask_b32_e64 v52, 0, v53, s1
	v_fmac_f32_e32 v44, v47, v50
	s_ashr_i64 s[0:1], s[48:49], 29
	v_fmac_f32_e32 v51, v80, v41
	v_fmac_f32_e32 v43, v45, v46
	v_cndmask_b32_e64 v45, 0x7f800000, v52, s33
	s_waitcnt lgkmcnt(0)
	s_delay_alu instid0(VALU_DEP_3) | instskip(NEXT) | instid1(VALU_DEP_2)
	v_fmac_f32_e32 v51, v81, v42
	v_fmac_f32_e32 v23, v25, v45
	v_add_co_u32 v45, s0, v17, s0
	s_delay_alu instid0(VALU_DEP_3) | instskip(SKIP_1) | instid1(VALU_DEP_2)
	v_fmac_f32_e32 v51, v82, v43
	v_add_co_ci_u32_e64 v46, s0, s1, v18, s0
	v_fmac_f32_e32 v51, v83, v44
	s_delay_alu instid0(VALU_DEP_1)
	v_fmac_f32_e32 v51, v84, v23
	global_store_b32 v[45:46], v51, off
	s_waitcnt_vscnt null, 0x0
	s_barrier
	buffer_gl0_inv
	s_and_saveexec_b32 s0, vcc_lo
	s_cbranch_execz .LBB5_14
; %bb.13:
	v_mad_i64_i32 v[45:46], null, s34, 12, v[35:36]
	v_mad_i64_i32 v[35:36], null, s36, 12, v[37:38]
	global_load_b32 v25, v[45:46], off
	global_load_b32 v35, v[35:36], off
	s_waitcnt vmcnt(1)
	ds_store_b32 v39, v25
	s_waitcnt vmcnt(0)
	ds_store_b32 v0, v35
.LBB5_14:
	s_or_b32 exec_lo, exec_lo, s0
	v_add_co_u32 v21, vcc_lo, v21, s44
	v_add_co_ci_u32_e32 v22, vcc_lo, s45, v22, vcc_lo
	s_waitcnt lgkmcnt(0)
	s_barrier
	buffer_gl0_inv
	global_load_b32 v0, v[21:22], off
	s_mov_b32 s1, exec_lo
	s_waitcnt vmcnt(0)
	v_cmpx_ge_f32_e32 0x41a00000, v0
	s_cbranch_execz .LBB5_16
; %bb.15:
	v_mul_f32_e32 v21, 0x3fb8aa3b, v0
	v_cmp_ngt_f32_e32 vcc_lo, 0xc2ce8ed0, v0
	s_mov_b32 s0, 0x3e9b6dac
	s_delay_alu instid0(VALU_DEP_2) | instskip(SKIP_1) | instid1(VALU_DEP_2)
	v_rndne_f32_e32 v22, v21
	v_fma_f32 v25, 0x3fb8aa3b, v0, -v21
	v_sub_f32_e32 v21, v21, v22
	s_delay_alu instid0(VALU_DEP_2) | instskip(SKIP_1) | instid1(VALU_DEP_2)
	v_fmamk_f32 v25, v0, 0x32a5705f, v25
	v_cvt_i32_f32_e32 v22, v22
	v_add_f32_e32 v21, v21, v25
	s_delay_alu instid0(VALU_DEP_1) | instskip(SKIP_2) | instid1(VALU_DEP_1)
	v_exp_f32_e32 v21, v21
	s_waitcnt_depctr 0xfff
	v_ldexp_f32 v21, v21, v22
	v_cndmask_b32_e32 v21, 0, v21, vcc_lo
	v_cmp_nlt_f32_e32 vcc_lo, 0x42b17218, v0
	s_delay_alu instid0(VALU_DEP_2) | instskip(NEXT) | instid1(VALU_DEP_1)
	v_cndmask_b32_e32 v0, 0x7f800000, v21, vcc_lo
	v_add_f32_e32 v25, 1.0, v0
	s_delay_alu instid0(VALU_DEP_1) | instskip(NEXT) | instid1(VALU_DEP_1)
	v_cvt_f64_f32_e32 v[21:22], v25
	v_frexp_exp_i32_f64_e32 v21, v[21:22]
	v_frexp_mant_f32_e32 v22, v25
	s_delay_alu instid0(VALU_DEP_1) | instskip(SKIP_1) | instid1(VALU_DEP_1)
	v_cmp_gt_f32_e32 vcc_lo, 0x3f2aaaab, v22
	v_add_f32_e32 v22, -1.0, v25
	v_sub_f32_e32 v36, v22, v25
	v_sub_f32_e32 v22, v0, v22
	s_delay_alu instid0(VALU_DEP_2) | instskip(NEXT) | instid1(VALU_DEP_1)
	v_add_f32_e32 v36, 1.0, v36
	v_add_f32_e32 v22, v22, v36
	v_subrev_co_ci_u32_e32 v21, vcc_lo, 0, v21, vcc_lo
	s_delay_alu instid0(VALU_DEP_1) | instskip(SKIP_1) | instid1(VALU_DEP_2)
	v_sub_nc_u32_e32 v35, 0, v21
	v_cvt_f32_i32_e32 v21, v21
	v_ldexp_f32 v25, v25, v35
	v_ldexp_f32 v22, v22, v35
	s_delay_alu instid0(VALU_DEP_2) | instskip(NEXT) | instid1(VALU_DEP_1)
	v_add_f32_e32 v37, 1.0, v25
	v_add_f32_e32 v36, -1.0, v37
	s_delay_alu instid0(VALU_DEP_1) | instskip(NEXT) | instid1(VALU_DEP_1)
	v_dual_sub_f32 v36, v25, v36 :: v_dual_add_f32 v35, -1.0, v25
	v_add_f32_e32 v36, v22, v36
	s_delay_alu instid0(VALU_DEP_2) | instskip(NEXT) | instid1(VALU_DEP_1)
	v_add_f32_e32 v38, 1.0, v35
	v_sub_f32_e32 v25, v25, v38
	v_cmp_eq_f32_e32 vcc_lo, 0x7f800000, v0
	s_delay_alu instid0(VALU_DEP_2) | instskip(NEXT) | instid1(VALU_DEP_1)
	v_add_f32_e32 v22, v22, v25
	v_dual_add_f32 v39, v35, v22 :: v_dual_add_f32 v38, v37, v36
	s_delay_alu instid0(VALU_DEP_1) | instskip(NEXT) | instid1(VALU_DEP_2)
	v_sub_f32_e32 v35, v35, v39
	v_rcp_f32_e32 v25, v38
	s_waitcnt_depctr 0xfff
	v_mul_f32_e32 v45, v39, v25
	v_dual_sub_f32 v37, v37, v38 :: v_dual_add_f32 v22, v22, v35
	s_delay_alu instid0(VALU_DEP_1) | instskip(NEXT) | instid1(VALU_DEP_3)
	v_add_f32_e32 v36, v36, v37
	v_mul_f32_e32 v46, v38, v45
	s_delay_alu instid0(VALU_DEP_1) | instskip(NEXT) | instid1(VALU_DEP_1)
	v_fma_f32 v37, v45, v38, -v46
	v_fmac_f32_e32 v37, v45, v36
	s_delay_alu instid0(VALU_DEP_1) | instskip(NEXT) | instid1(VALU_DEP_1)
	v_add_f32_e32 v47, v46, v37
	v_sub_f32_e32 v50, v39, v47
	s_delay_alu instid0(VALU_DEP_1) | instskip(NEXT) | instid1(VALU_DEP_1)
	v_sub_f32_e32 v39, v39, v50
	v_sub_f32_e32 v39, v39, v47
	s_delay_alu instid0(VALU_DEP_1) | instskip(NEXT) | instid1(VALU_DEP_1)
	v_dual_sub_f32 v35, v47, v46 :: v_dual_add_f32 v22, v22, v39
	v_sub_f32_e32 v35, v35, v37
	s_delay_alu instid0(VALU_DEP_1) | instskip(NEXT) | instid1(VALU_DEP_1)
	v_add_f32_e32 v22, v35, v22
	v_add_f32_e32 v35, v50, v22
	s_delay_alu instid0(VALU_DEP_1) | instskip(NEXT) | instid1(VALU_DEP_1)
	v_mul_f32_e32 v37, v25, v35
	v_mul_f32_e32 v39, v38, v37
	v_sub_f32_e32 v47, v50, v35
	s_delay_alu instid0(VALU_DEP_2) | instskip(NEXT) | instid1(VALU_DEP_2)
	v_fma_f32 v38, v37, v38, -v39
	v_add_f32_e32 v22, v22, v47
	s_delay_alu instid0(VALU_DEP_2) | instskip(NEXT) | instid1(VALU_DEP_1)
	v_fmac_f32_e32 v38, v37, v36
	v_add_f32_e32 v36, v39, v38
	s_delay_alu instid0(VALU_DEP_1) | instskip(NEXT) | instid1(VALU_DEP_1)
	v_sub_f32_e32 v46, v35, v36
	v_sub_f32_e32 v35, v35, v46
	s_delay_alu instid0(VALU_DEP_1) | instskip(NEXT) | instid1(VALU_DEP_1)
	v_sub_f32_e32 v35, v35, v36
	v_dual_add_f32 v22, v22, v35 :: v_dual_add_f32 v35, v45, v37
	v_sub_f32_e32 v39, v36, v39
	s_delay_alu instid0(VALU_DEP_1) | instskip(NEXT) | instid1(VALU_DEP_1)
	v_sub_f32_e32 v36, v39, v38
	v_add_f32_e32 v22, v36, v22
	s_delay_alu instid0(VALU_DEP_4) | instskip(NEXT) | instid1(VALU_DEP_2)
	v_sub_f32_e32 v36, v35, v45
	v_add_f32_e32 v22, v46, v22
	s_delay_alu instid0(VALU_DEP_2) | instskip(NEXT) | instid1(VALU_DEP_2)
	v_sub_f32_e32 v36, v37, v36
	v_mul_f32_e32 v22, v25, v22
	s_delay_alu instid0(VALU_DEP_1) | instskip(NEXT) | instid1(VALU_DEP_1)
	v_add_f32_e32 v22, v36, v22
	v_add_f32_e32 v25, v35, v22
	s_delay_alu instid0(VALU_DEP_1) | instskip(NEXT) | instid1(VALU_DEP_1)
	v_mul_f32_e32 v36, v25, v25
	v_fmaak_f32 v37, s0, v36, 0x3ecc95a3
	v_mul_f32_e32 v38, v25, v36
	v_cmp_gt_f32_e64 s0, 0x33800000, v0
	s_delay_alu instid0(VALU_DEP_3) | instskip(SKIP_2) | instid1(VALU_DEP_4)
	v_fmaak_f32 v36, v36, v37, 0x3f2aaada
	v_ldexp_f32 v37, v25, 1
	v_sub_f32_e32 v25, v25, v35
	s_or_b32 vcc_lo, s0, vcc_lo
	s_delay_alu instid0(VALU_DEP_3) | instskip(NEXT) | instid1(VALU_DEP_1)
	v_mul_f32_e32 v36, v38, v36
	v_dual_mul_f32 v38, 0x3f317218, v21 :: v_dual_add_f32 v35, v37, v36
	s_delay_alu instid0(VALU_DEP_3) | instskip(NEXT) | instid1(VALU_DEP_2)
	v_sub_f32_e32 v22, v22, v25
	v_sub_f32_e32 v25, v35, v37
	s_delay_alu instid0(VALU_DEP_3) | instskip(NEXT) | instid1(VALU_DEP_3)
	v_fma_f32 v37, 0x3f317218, v21, -v38
	v_ldexp_f32 v22, v22, 1
	s_delay_alu instid0(VALU_DEP_2) | instskip(NEXT) | instid1(VALU_DEP_4)
	v_fmamk_f32 v21, v21, 0xb102e308, v37
	v_sub_f32_e32 v25, v36, v25
	s_delay_alu instid0(VALU_DEP_1) | instskip(NEXT) | instid1(VALU_DEP_1)
	v_add_f32_e32 v22, v22, v25
	v_dual_add_f32 v25, v38, v21 :: v_dual_add_f32 v36, v35, v22
	s_delay_alu instid0(VALU_DEP_1) | instskip(SKIP_1) | instid1(VALU_DEP_2)
	v_add_f32_e32 v37, v25, v36
	v_sub_f32_e32 v35, v36, v35
	v_sub_f32_e32 v39, v37, v25
	;; [unrolled: 1-line block ×3, first 2 shown]
	s_delay_alu instid0(VALU_DEP_2) | instskip(NEXT) | instid1(VALU_DEP_4)
	v_sub_f32_e32 v45, v37, v39
	v_sub_f32_e32 v22, v22, v35
	;; [unrolled: 1-line block ×3, first 2 shown]
	s_delay_alu instid0(VALU_DEP_4) | instskip(NEXT) | instid1(VALU_DEP_4)
	v_sub_f32_e32 v21, v21, v38
	v_sub_f32_e32 v25, v25, v45
	s_delay_alu instid0(VALU_DEP_1) | instskip(NEXT) | instid1(VALU_DEP_1)
	v_dual_add_f32 v36, v21, v22 :: v_dual_add_f32 v25, v35, v25
	v_sub_f32_e32 v35, v36, v21
	s_delay_alu instid0(VALU_DEP_2) | instskip(NEXT) | instid1(VALU_DEP_2)
	v_add_f32_e32 v25, v36, v25
	v_sub_f32_e32 v36, v36, v35
	v_sub_f32_e32 v22, v22, v35
	s_delay_alu instid0(VALU_DEP_3) | instskip(NEXT) | instid1(VALU_DEP_3)
	v_add_f32_e32 v38, v37, v25
	v_sub_f32_e32 v21, v21, v36
	s_delay_alu instid0(VALU_DEP_2) | instskip(NEXT) | instid1(VALU_DEP_1)
	v_sub_f32_e32 v35, v38, v37
	v_dual_add_f32 v21, v22, v21 :: v_dual_sub_f32 v22, v25, v35
	s_delay_alu instid0(VALU_DEP_1) | instskip(NEXT) | instid1(VALU_DEP_1)
	v_add_f32_e32 v21, v21, v22
	v_add_f32_e32 v21, v38, v21
	s_delay_alu instid0(VALU_DEP_1)
	v_cndmask_b32_e32 v0, v21, v0, vcc_lo
.LBB5_16:
	s_or_b32 exec_lo, exec_lo, s1
	v_mad_i64_i32 v[21:22], null, s38, 12, v[19:20]
	s_delay_alu instid0(VALU_DEP_2)
	v_dual_mov_b32 v45, 0 :: v_dual_mul_f32 v46, v0, v14
	v_mul_f32_e32 v39, v0, v13
	s_add_u32 s0, s50, s40
	s_mul_i32 s1, s14, s53
	s_addc_u32 s2, s51, s41
	v_mul_f32_e32 v72, 0x3fb8aa3b, v46
	global_load_b32 v25, v[21:22], off
	v_dual_mul_f32 v58, v0, v16 :: v_dual_mul_f32 v71, 0x3fb8aa3b, v39
	v_mul_f32_e32 v47, v0, v15
	v_rndne_f32_e32 v89, v72
	v_fma_f32 v88, 0x3fb8aa3b, v46, -v72
	s_delay_alu instid0(VALU_DEP_4) | instskip(NEXT) | instid1(VALU_DEP_4)
	v_mul_f32_e32 v74, 0x3fb8aa3b, v58
	v_dual_mul_f32 v60, v0, v10 :: v_dual_mul_f32 v73, 0x3fb8aa3b, v47
	v_mul_f32_e32 v59, v0, v9
	v_fma_f32 v86, 0x3fb8aa3b, v39, -v71
	s_delay_alu instid0(VALU_DEP_3) | instskip(NEXT) | instid1(VALU_DEP_3)
	v_dual_mul_f32 v67, v0, v1 :: v_dual_mul_f32 v76, 0x3fb8aa3b, v60
	v_dual_mul_f32 v62, v0, v12 :: v_dual_mul_f32 v75, 0x3fb8aa3b, v59
	v_mul_f32_e32 v61, v0, v11
	s_delay_alu instid0(VALU_DEP_4) | instskip(NEXT) | instid1(VALU_DEP_4)
	v_fmac_f32_e32 v86, 0x32a5705f, v39
	v_dual_mul_f32 v70, v0, v4 :: v_dual_mul_f32 v83, 0x3fb8aa3b, v67
	s_delay_alu instid0(VALU_DEP_4) | instskip(NEXT) | instid1(VALU_DEP_4)
	v_mul_f32_e32 v78, 0x3fb8aa3b, v62
	v_dual_mul_f32 v64, v0, v6 :: v_dual_mul_f32 v77, 0x3fb8aa3b, v61
	v_mul_f32_e32 v63, v0, v5
	s_delay_alu instid0(VALU_DEP_4) | instskip(NEXT) | instid1(VALU_DEP_3)
	v_dual_mul_f32 v85, 0x3fb8aa3b, v70 :: v_dual_sub_f32 v72, v72, v89
	v_mul_f32_e32 v80, 0x3fb8aa3b, v64
	v_fma_f32 v94, 0x3fb8aa3b, v59, -v75
	v_rndne_f32_e32 v95, v75
	v_dual_mul_f32 v66, v0, v8 :: v_dual_mul_f32 v79, 0x3fb8aa3b, v63
	v_mul_f32_e32 v65, v0, v7
	v_fma_f32 v96, 0x3fb8aa3b, v60, -v76
	v_rndne_f32_e32 v105, v80
	s_delay_alu instid0(VALU_DEP_4)
	v_mul_f32_e32 v82, 0x3fb8aa3b, v66
	v_rndne_f32_e32 v117, v85
	v_fmac_f32_e32 v94, 0x32a5705f, v59
	v_dual_sub_f32 v75, v75, v95 :: v_dual_fmac_f32 v96, 0x32a5705f, v60
	v_dual_mul_f32 v68, v0, v2 :: v_dual_mul_f32 v81, 0x3fb8aa3b, v65
	v_rndne_f32_e32 v87, v71
	v_rndne_f32_e32 v97, v76
	v_fma_f32 v98, 0x3fb8aa3b, v61, -v77
	v_rndne_f32_e32 v99, v77
	v_fma_f32 v104, 0x3fb8aa3b, v64, -v80
	v_fma_f32 v116, 0x3fb8aa3b, v70, -v85
	v_sub_f32_e32 v85, v85, v117
	v_dual_sub_f32 v80, v80, v105 :: v_dual_add_f32 v75, v75, v94
	v_fma_f32 v92, 0x3fb8aa3b, v58, -v74
	v_fma_f32 v102, 0x3fb8aa3b, v63, -v79
	v_rndne_f32_e32 v103, v79
	v_fma_f32 v106, 0x3fb8aa3b, v65, -v81
	s_delay_alu instid0(VALU_DEP_4) | instskip(SKIP_1) | instid1(VALU_DEP_4)
	v_dual_sub_f32 v71, v71, v87 :: v_dual_fmac_f32 v92, 0x32a5705f, v58
	v_dual_sub_f32 v76, v76, v97 :: v_dual_sub_f32 v77, v77, v99
	v_dual_fmac_f32 v98, 0x32a5705f, v61 :: v_dual_sub_f32 v79, v79, v103
	v_exp_f32_e32 v75, v75
	v_dual_mul_f32 v69, v0, v3 :: v_dual_fmac_f32 v88, 0x32a5705f, v46
	ds_load_b128 v[1:4], v45
	ds_load_b128 v[5:8], v45 offset:16
	ds_load_b128 v[9:12], v45 offset:32
	;; [unrolled: 1-line block ×7, first 2 shown]
	v_dual_mul_f32 v45, 0x3fb8aa3b, v68 :: v_dual_mul_f32 v84, 0x3fb8aa3b, v69
	v_fma_f32 v90, 0x3fb8aa3b, v47, -v73
	v_rndne_f32_e32 v91, v73
	v_cvt_i32_f32_e32 v95, v95
	v_dual_fmac_f32 v102, 0x32a5705f, v63 :: v_dual_add_f32 v71, v71, v86
	v_dual_fmac_f32 v106, 0x32a5705f, v65 :: v_dual_add_f32 v77, v77, v98
	v_rndne_f32_e32 v93, v74
	v_rndne_f32_e32 v109, v82
	;; [unrolled: 1-line block ×3, first 2 shown]
	v_fmac_f32_e32 v90, 0x32a5705f, v47
	s_delay_alu instid0(VALU_DEP_4)
	v_dual_sub_f32 v73, v73, v91 :: v_dual_sub_f32 v74, v74, v93
	v_exp_f32_e32 v71, v71
	v_exp_f32_e32 v77, v77
	v_ldexp_f32 v75, v75, v95
	v_add_f32_e32 v72, v72, v88
	v_fma_f32 v100, 0x3fb8aa3b, v62, -v78
	v_rndne_f32_e32 v107, v81
	v_fma_f32 v108, 0x3fb8aa3b, v66, -v82
	v_fma_f32 v112, 0x3fb8aa3b, v68, -v45
	v_cvt_i32_f32_e32 v87, v87
	v_cvt_i32_f32_e32 v99, v99
	v_dual_sub_f32 v82, v82, v109 :: v_dual_add_f32 v79, v79, v102
	v_dual_sub_f32 v45, v45, v113 :: v_dual_fmac_f32 v104, 0x32a5705f, v64
	v_add_f32_e32 v73, v73, v90
	v_exp_f32_e32 v72, v72
	v_fma_f32 v110, 0x3fb8aa3b, v67, -v83
	v_fma_f32 v114, 0x3fb8aa3b, v69, -v84
	v_cvt_i32_f32_e32 v89, v89
	v_dual_fmac_f32 v100, 0x32a5705f, v62 :: v_dual_sub_f32 v81, v81, v107
	v_exp_f32_e32 v73, v73
	v_exp_f32_e32 v79, v79
	v_ldexp_f32 v71, v71, v87
	v_ldexp_f32 v77, v77, v99
	v_add_f32_e32 v74, v74, v92
	v_cmp_ngt_f32_e32 vcc_lo, 0xc2ce8ed0, v39
	v_fmac_f32_e32 v116, 0x32a5705f, v70
	v_rndne_f32_e32 v101, v78
	v_rndne_f32_e32 v111, v83
	v_cvt_i32_f32_e32 v91, v91
	v_cndmask_b32_e32 v71, 0, v71, vcc_lo
	v_cvt_i32_f32_e32 v103, v103
	v_dual_fmac_f32 v110, 0x32a5705f, v67 :: v_dual_add_f32 v81, v81, v106
	v_dual_fmac_f32 v114, 0x32a5705f, v69 :: v_dual_add_f32 v85, v85, v116
	v_exp_f32_e32 v74, v74
	v_ldexp_f32 v72, v72, v89
	v_cmp_ngt_f32_e32 vcc_lo, 0xc2ce8ed0, v46
	v_rndne_f32_e32 v115, v84
	v_cvt_i32_f32_e32 v93, v93
	v_dual_sub_f32 v78, v78, v101 :: v_dual_sub_f32 v83, v83, v111
	v_exp_f32_e32 v81, v81
	v_exp_f32_e32 v85, v85
	v_ldexp_f32 v73, v73, v91
	v_ldexp_f32 v79, v79, v103
	v_add_f32_e32 v76, v76, v96
	v_cndmask_b32_e32 v72, 0, v72, vcc_lo
	v_cmp_ngt_f32_e32 vcc_lo, 0xc2ce8ed0, v47
	v_cvt_i32_f32_e32 v107, v107
	v_dual_fmac_f32 v112, 0x32a5705f, v68 :: v_dual_add_f32 v83, v83, v110
	v_dual_sub_f32 v84, v84, v115 :: v_dual_cndmask_b32 v73, 0, v73
	v_cvt_i32_f32_e32 v117, v117
	v_exp_f32_e32 v76, v76
	v_ldexp_f32 v74, v74, v93
	v_cmp_ngt_f32_e32 vcc_lo, 0xc2ce8ed0, v58
	v_cvt_i32_f32_e32 v97, v97
	v_exp_f32_e32 v83, v83
	v_ldexp_f32 v81, v81, v107
	v_add_f32_e32 v78, v78, v100
	v_ldexp_f32 v85, v85, v117
	v_cndmask_b32_e32 v74, 0, v74, vcc_lo
	v_cmp_ngt_f32_e32 vcc_lo, 0xc2ce8ed0, v59
	v_dual_fmac_f32 v108, 0x32a5705f, v66 :: v_dual_add_f32 v45, v45, v112
	v_cvt_i32_f32_e32 v111, v111
	v_exp_f32_e32 v78, v78
	v_ldexp_f32 v76, v76, v97
	v_cndmask_b32_e32 v75, 0, v75, vcc_lo
	v_cmp_ngt_f32_e32 vcc_lo, 0xc2ce8ed0, v60
	v_cvt_i32_f32_e32 v101, v101
	v_exp_f32_e32 v45, v45
	v_ldexp_f32 v83, v83, v111
	v_add_f32_e32 v80, v80, v104
	v_cvt_i32_f32_e32 v113, v113
	v_cvt_i32_f32_e32 v105, v105
	v_ldexp_f32 v78, v78, v101
	v_cvt_i32_f32_e32 v109, v109
	v_exp_f32_e32 v80, v80
	v_add_f32_e32 v84, v84, v114
	v_cvt_i32_f32_e32 v115, v115
	v_ldexp_f32 v45, v45, v113
	v_add_f32_e32 v82, v82, v108
	s_add_u32 s0, s0, s1
	v_exp_f32_e32 v84, v84
	s_addc_u32 s1, s2, 0
	s_add_u32 s0, s0, s60
	v_exp_f32_e32 v82, v82
	v_ldexp_f32 v80, v80, v105
	s_addc_u32 s1, s1, s61
	s_waitcnt_depctr 0xfff
	v_ldexp_f32 v84, v84, v115
	v_ldexp_f32 v82, v82, v109
	s_waitcnt vmcnt(0)
	v_dual_mul_f32 v25, v0, v25 :: v_dual_cndmask_b32 v76, 0, v76
	v_cmp_ngt_f32_e32 vcc_lo, 0xc2ce8ed0, v61
	s_waitcnt lgkmcnt(7)
	s_delay_alu instid0(VALU_DEP_2)
	v_mul_f32_e32 v0, v25, v1
	v_mul_f32_e32 v1, v25, v2
	v_cndmask_b32_e32 v77, 0, v77, vcc_lo
	v_cmp_ngt_f32_e32 vcc_lo, 0xc2ce8ed0, v62
	v_mul_f32_e32 v2, v25, v3
	v_mul_f32_e32 v3, v25, v4
	s_waitcnt lgkmcnt(6)
	v_mul_f32_e32 v4, v25, v5
	v_mul_f32_e32 v5, v25, v6
	v_cndmask_b32_e32 v78, 0, v78, vcc_lo
	v_cmp_ngt_f32_e32 vcc_lo, 0xc2ce8ed0, v63
	v_cndmask_b32_e32 v79, 0, v79, vcc_lo
	v_cmp_ngt_f32_e32 vcc_lo, 0xc2ce8ed0, v64
	;; [unrolled: 2-line block ×7, first 2 shown]
	v_mul_f32_e32 v6, v25, v7
	v_mul_f32_e32 v7, v25, v8
	s_waitcnt lgkmcnt(5)
	v_mul_f32_e32 v8, v25, v9
	v_dual_mul_f32 v9, v25, v10 :: v_dual_cndmask_b32 v84, 0, v84
	v_cmp_nlt_f32_e32 vcc_lo, 0x42b17218, v39
	v_mul_f32_e32 v10, v25, v11
	v_mul_f32_e32 v11, v25, v12
	s_waitcnt lgkmcnt(4)
	v_mul_f32_e32 v12, v25, v13
	v_mul_f32_e32 v13, v25, v14
	v_cndmask_b32_e32 v39, 0x7f800000, v71, vcc_lo
	v_cmp_ngt_f32_e32 vcc_lo, 0xc2ce8ed0, v70
	v_mul_f32_e32 v14, v25, v15
	v_mul_f32_e32 v15, v25, v16
	v_cndmask_b32_e32 v71, 0, v85, vcc_lo
	v_cmp_nlt_f32_e32 vcc_lo, 0x42b17218, v46
	v_cndmask_b32_e32 v46, 0x7f800000, v72, vcc_lo
	v_cmp_nlt_f32_e32 vcc_lo, 0x42b17218, v47
	s_delay_alu instid0(VALU_DEP_2) | instskip(SKIP_3) | instid1(VALU_DEP_3)
	v_dual_fmac_f32 v0, v48, v39 :: v_dual_fmac_f32 v1, v49, v46
	v_cndmask_b32_e32 v39, 0x7f800000, v73, vcc_lo
	v_cmp_nlt_f32_e32 vcc_lo, 0x42b17218, v58
	s_waitcnt lgkmcnt(3)
	v_fma_f32 v46, v19, v0, 0
	v_cndmask_b32_e32 v19, 0x7f800000, v74, vcc_lo
	v_cmp_nlt_f32_e32 vcc_lo, 0x42b17218, v59
	s_delay_alu instid0(VALU_DEP_2) | instskip(SKIP_2) | instid1(VALU_DEP_2)
	v_dual_fmac_f32 v46, v20, v1 :: v_dual_fmac_f32 v3, v26, v19
	v_cndmask_b32_e32 v20, 0x7f800000, v75, vcc_lo
	v_cmp_nlt_f32_e32 vcc_lo, 0x42b17218, v60
	v_fmac_f32_e32 v4, v27, v20
	v_cndmask_b32_e32 v19, 0x7f800000, v76, vcc_lo
	v_cmp_nlt_f32_e32 vcc_lo, 0x42b17218, v61
	s_delay_alu instid0(VALU_DEP_2) | instskip(SKIP_2) | instid1(VALU_DEP_3)
	v_dual_fmac_f32 v5, v28, v19 :: v_dual_cndmask_b32 v20, 0x7f800000, v77
	v_cmp_nlt_f32_e32 vcc_lo, 0x42b17218, v62
	v_fmac_f32_e32 v2, v24, v39
	v_dual_fmac_f32 v6, v29, v20 :: v_dual_cndmask_b32 v19, 0x7f800000, v78
	v_cmp_nlt_f32_e32 vcc_lo, 0x42b17218, v63
	s_delay_alu instid0(VALU_DEP_2) | instskip(SKIP_3) | instid1(VALU_DEP_3)
	v_fmac_f32_e32 v7, v30, v19
	v_cndmask_b32_e32 v20, 0x7f800000, v79, vcc_lo
	v_cmp_nlt_f32_e32 vcc_lo, 0x42b17218, v64
	v_fmac_f32_e32 v46, v21, v2
	v_fmac_f32_e32 v8, v31, v20
	v_cndmask_b32_e32 v19, 0x7f800000, v80, vcc_lo
	v_cmp_nlt_f32_e32 vcc_lo, 0x42b17218, v65
	s_delay_alu instid0(VALU_DEP_2) | instskip(SKIP_2) | instid1(VALU_DEP_3)
	v_dual_fmac_f32 v9, v32, v19 :: v_dual_cndmask_b32 v20, 0x7f800000, v81
	v_cmp_nlt_f32_e32 vcc_lo, 0x42b17218, v66
	v_fmac_f32_e32 v46, v22, v3
	v_dual_fmac_f32 v10, v40, v20 :: v_dual_cndmask_b32 v19, 0x7f800000, v82
	v_cmp_nlt_f32_e32 vcc_lo, 0x42b17218, v67
	s_waitcnt lgkmcnt(2)
	s_delay_alu instid0(VALU_DEP_2) | instskip(SKIP_2) | instid1(VALU_DEP_2)
	v_dual_fmac_f32 v46, v35, v4 :: v_dual_fmac_f32 v11, v41, v19
	v_cndmask_b32_e32 v20, 0x7f800000, v83, vcc_lo
	v_cmp_nlt_f32_e32 vcc_lo, 0x42b17218, v68
	v_dual_fmac_f32 v12, v42, v20 :: v_dual_cndmask_b32 v19, 0x7f800000, v45
	v_cmp_nlt_f32_e32 vcc_lo, 0x42b17218, v69
	s_delay_alu instid0(VALU_DEP_2) | instskip(SKIP_2) | instid1(VALU_DEP_3)
	v_dual_fmac_f32 v13, v43, v19 :: v_dual_cndmask_b32 v20, 0x7f800000, v84
	v_cmp_nlt_f32_e32 vcc_lo, 0x42b17218, v70
	v_fmac_f32_e32 v46, v36, v5
	v_dual_fmac_f32 v14, v44, v20 :: v_dual_cndmask_b32 v21, 0x7f800000, v71
	s_delay_alu instid0(VALU_DEP_2) | instskip(SKIP_2) | instid1(VALU_DEP_3)
	v_fmac_f32_e32 v46, v37, v6
	v_mad_i64_i32 v[19:20], null, s46, 12, v[17:18]
	v_add_co_u32 v16, vcc_lo, s0, v33
	v_dual_fmac_f32 v15, v23, v21 :: v_dual_fmac_f32 v46, v38, v7
	v_add_co_ci_u32_e32 v17, vcc_lo, s1, v34, vcc_lo
	s_waitcnt lgkmcnt(1)
	s_delay_alu instid0(VALU_DEP_2) | instskip(NEXT) | instid1(VALU_DEP_1)
	v_fmac_f32_e32 v46, v50, v8
	v_fmac_f32_e32 v46, v51, v9
	s_delay_alu instid0(VALU_DEP_1) | instskip(NEXT) | instid1(VALU_DEP_1)
	v_fmac_f32_e32 v46, v52, v10
	v_fmac_f32_e32 v46, v53, v11
	s_waitcnt lgkmcnt(0)
	s_delay_alu instid0(VALU_DEP_1) | instskip(NEXT) | instid1(VALU_DEP_1)
	v_fmac_f32_e32 v46, v54, v12
	v_fmac_f32_e32 v46, v55, v13
	s_delay_alu instid0(VALU_DEP_1) | instskip(NEXT) | instid1(VALU_DEP_1)
	v_fmac_f32_e32 v46, v56, v14
	v_fmac_f32_e32 v46, v57, v15
	global_store_b32 v[19:20], v46, off
	s_waitcnt_vscnt null, 0x0
	s_barrier
	buffer_gl0_inv
	s_clause 0x3
	global_store_b128 v[16:17], v[0:3], off
	global_store_b128 v[16:17], v[4:7], off offset:16
	global_store_b128 v[16:17], v[8:11], off offset:32
	;; [unrolled: 1-line block ×3, first 2 shown]
	s_nop 0
	s_sendmsg sendmsg(MSG_DEALLOC_VGPRS)
	s_endpgm
	.section	.rodata,"a",@progbits
	.p2align	6, 0x0
	.amdhsa_kernel _Z12ssm_scan_f32ILm128ELm16ELm4EEvPKfS1_S1_S1_S1_S1_PKiPfiiiiiiiiiiilll
		.amdhsa_group_segment_fixed_size 128
		.amdhsa_private_segment_fixed_size 0
		.amdhsa_kernarg_size 136
		.amdhsa_user_sgpr_count 14
		.amdhsa_user_sgpr_dispatch_ptr 0
		.amdhsa_user_sgpr_queue_ptr 0
		.amdhsa_user_sgpr_kernarg_segment_ptr 1
		.amdhsa_user_sgpr_dispatch_id 0
		.amdhsa_user_sgpr_private_segment_size 0
		.amdhsa_wavefront_size32 1
		.amdhsa_uses_dynamic_stack 0
		.amdhsa_enable_private_segment 0
		.amdhsa_system_sgpr_workgroup_id_x 1
		.amdhsa_system_sgpr_workgroup_id_y 1
		.amdhsa_system_sgpr_workgroup_id_z 0
		.amdhsa_system_sgpr_workgroup_info 0
		.amdhsa_system_vgpr_workitem_id 0
		.amdhsa_next_free_vgpr 146
		.amdhsa_next_free_sgpr 62
		.amdhsa_reserve_vcc 1
		.amdhsa_float_round_mode_32 0
		.amdhsa_float_round_mode_16_64 0
		.amdhsa_float_denorm_mode_32 3
		.amdhsa_float_denorm_mode_16_64 3
		.amdhsa_dx10_clamp 1
		.amdhsa_ieee_mode 1
		.amdhsa_fp16_overflow 0
		.amdhsa_workgroup_processor_mode 1
		.amdhsa_memory_ordered 1
		.amdhsa_forward_progress 0
		.amdhsa_shared_vgpr_count 0
		.amdhsa_exception_fp_ieee_invalid_op 0
		.amdhsa_exception_fp_denorm_src 0
		.amdhsa_exception_fp_ieee_div_zero 0
		.amdhsa_exception_fp_ieee_overflow 0
		.amdhsa_exception_fp_ieee_underflow 0
		.amdhsa_exception_fp_ieee_inexact 0
		.amdhsa_exception_int_div_zero 0
	.end_amdhsa_kernel
	.section	.text._Z12ssm_scan_f32ILm128ELm16ELm4EEvPKfS1_S1_S1_S1_S1_PKiPfiiiiiiiiiiilll,"axG",@progbits,_Z12ssm_scan_f32ILm128ELm16ELm4EEvPKfS1_S1_S1_S1_S1_PKiPfiiiiiiiiiiilll,comdat
.Lfunc_end5:
	.size	_Z12ssm_scan_f32ILm128ELm16ELm4EEvPKfS1_S1_S1_S1_S1_PKiPfiiiiiiiiiiilll, .Lfunc_end5-_Z12ssm_scan_f32ILm128ELm16ELm4EEvPKfS1_S1_S1_S1_S1_PKiPfiiiiiiiiiiilll
                                        ; -- End function
	.section	.AMDGPU.csdata,"",@progbits
; Kernel info:
; codeLenInByte = 12680
; NumSgprs: 64
; NumVgprs: 146
; ScratchSize: 0
; MemoryBound: 0
; FloatMode: 240
; IeeeMode: 1
; LDSByteSize: 128 bytes/workgroup (compile time only)
; SGPRBlocks: 7
; VGPRBlocks: 18
; NumSGPRsForWavesPerEU: 64
; NumVGPRsForWavesPerEU: 146
; Occupancy: 9
; WaveLimiterHint : 1
; COMPUTE_PGM_RSRC2:SCRATCH_EN: 0
; COMPUTE_PGM_RSRC2:USER_SGPR: 14
; COMPUTE_PGM_RSRC2:TRAP_HANDLER: 0
; COMPUTE_PGM_RSRC2:TGID_X_EN: 1
; COMPUTE_PGM_RSRC2:TGID_Y_EN: 1
; COMPUTE_PGM_RSRC2:TGID_Z_EN: 0
; COMPUTE_PGM_RSRC2:TIDIG_COMP_CNT: 0
	.section	.text._Z12ssm_scan_f32ILm128ELm16ELm5EEvPKfS1_S1_S1_S1_S1_PKiPfiiiiiiiiiiilll,"axG",@progbits,_Z12ssm_scan_f32ILm128ELm16ELm5EEvPKfS1_S1_S1_S1_S1_PKiPfiiiiiiiiiiilll,comdat
	.protected	_Z12ssm_scan_f32ILm128ELm16ELm5EEvPKfS1_S1_S1_S1_S1_PKiPfiiiiiiiiiiilll ; -- Begin function _Z12ssm_scan_f32ILm128ELm16ELm5EEvPKfS1_S1_S1_S1_S1_PKiPfiiiiiiiiiiilll
	.globl	_Z12ssm_scan_f32ILm128ELm16ELm5EEvPKfS1_S1_S1_S1_S1_PKiPfiiiiiiiiiiilll
	.p2align	8
	.type	_Z12ssm_scan_f32ILm128ELm16ELm5EEvPKfS1_S1_S1_S1_S1_PKiPfiiiiiiiiiiilll,@function
_Z12ssm_scan_f32ILm128ELm16ELm5EEvPKfS1_S1_S1_S1_S1_PKiPfiiiiiiiiiiilll: ; @_Z12ssm_scan_f32ILm128ELm16ELm5EEvPKfS1_S1_S1_S1_S1_PKiPfiiiiiiiiiiilll
; %bb.0:
	s_load_b512 s[16:31], s[0:1], 0x0
	s_mov_b32 s2, s15
	s_mov_b32 s15, 0
	v_dual_mov_b32 v2, 0 :: v_dual_lshlrev_b32 v55, 2, v0
	s_lshl_b64 s[4:5], s[14:15], 2
	s_load_b128 s[36:39], s[0:1], 0x60
	s_waitcnt lgkmcnt(0)
	s_add_u32 s12, s28, s4
	s_addc_u32 s13, s29, s5
	s_load_b256 s[4:11], s[0:1], 0x40
	s_load_b32 s3, s[12:13], 0x0
	s_waitcnt lgkmcnt(0)
	s_mul_i32 s3, s3, s5
	s_delay_alu instid0(SALU_CYCLE_1)
	s_ashr_i32 s12, s3, 31
	s_add_u32 s3, s16, s3
	s_addc_u32 s12, s17, s12
	s_lshl_b32 s13, s2, 7
	s_ashr_i32 s16, s4, 31
	s_lshr_b32 s17, s2, 25
	s_mul_i32 s16, s13, s16
	s_mul_hi_u32 s28, s13, s4
	s_mul_i32 s33, s17, s4
	s_add_i32 s16, s28, s16
	s_mul_i32 s29, s13, s4
	s_add_i32 s28, s16, s33
	s_add_u32 s3, s3, s29
	s_addc_u32 s12, s12, s28
	s_ashr_i32 s16, s10, 31
	s_mul_hi_u32 s33, s13, s10
	s_mul_i32 s16, s13, s16
	s_mul_i32 s17, s17, s10
	s_add_i32 s16, s33, s16
	s_mul_i32 s13, s13, s10
	s_add_i32 s16, s16, s17
	s_add_u32 s13, s22, s13
	s_addc_u32 s16, s23, s16
	s_ashr_i32 s10, s10, 2
	s_ashr_i32 s4, s4, 2
	v_mul_lo_u32 v1, s10, v0
	s_delay_alu instid0(VALU_DEP_1) | instskip(SKIP_2) | instid1(VALU_DEP_2)
	v_lshlrev_b64 v[3:4], 2, v[1:2]
	v_mul_lo_u32 v1, s4, v0
	s_mul_i32 s4, s14, s38
	v_add_co_u32 v13, vcc_lo, s13, v3
	s_delay_alu instid0(VALU_DEP_3) | instskip(NEXT) | instid1(VALU_DEP_3)
	v_add_co_ci_u32_e32 v14, vcc_lo, s16, v4, vcc_lo
	v_lshlrev_b64 v[41:42], 2, v[1:2]
	s_delay_alu instid0(VALU_DEP_1) | instskip(NEXT) | instid1(VALU_DEP_2)
	v_add_co_u32 v29, vcc_lo, s3, v41
	v_add_co_ci_u32_e32 v30, vcc_lo, s12, v42, vcc_lo
	s_clause 0x3
	global_load_b128 v[1:4], v[13:14], off offset:48
	global_load_b128 v[5:8], v[13:14], off offset:32
	;; [unrolled: 1-line block ×3, first 2 shown]
	global_load_b128 v[13:16], v[13:14], off
	s_clause 0x3
	global_load_b128 v[17:20], v[29:30], off offset:48
	global_load_b128 v[21:24], v[29:30], off offset:32
	;; [unrolled: 1-line block ×3, first 2 shown]
	global_load_b128 v[29:32], v[29:30], off
	s_mul_i32 s3, s14, s36
	v_cmp_gt_u32_e32 vcc_lo, 16, v0
	s_add_u32 s3, s24, s3
	s_addc_u32 s10, s25, 0
	s_add_u32 s4, s26, s4
	v_add_co_u32 v45, s3, s3, v55
	s_addc_u32 s12, s27, 0
	v_add_co_ci_u32_e64 v46, null, s10, 0, s3
	v_add_co_u32 v43, s3, s4, v55
	s_delay_alu instid0(VALU_DEP_1)
	v_add_co_ci_u32_e64 v44, null, s12, 0, s3
	v_add_nc_u32_e32 v0, 64, v55
	s_mov_b32 s3, s15
	s_and_saveexec_b32 s4, vcc_lo
	s_cbranch_execz .LBB6_2
; %bb.1:
	global_load_b32 v33, v[45:46], off
	global_load_b32 v34, v[43:44], off
	s_waitcnt vmcnt(1)
	ds_store_b32 v55, v33
	s_waitcnt vmcnt(0)
	ds_store_b32 v0, v34
.LBB6_2:
	s_or_b32 exec_lo, exec_lo, s4
	s_mul_i32 s4, s14, s9
	s_lshl_b64 s[12:13], s[2:3], 9
	s_add_u32 s2, s20, s4
	s_addc_u32 s3, s21, 0
	s_add_u32 s2, s2, s12
	s_addc_u32 s3, s3, s13
	s_waitcnt vmcnt(0) lgkmcnt(0)
	s_barrier
	buffer_gl0_inv
	global_load_b32 v35, v55, s[2:3]
	v_add_co_u32 v33, s2, s2, v55
	s_delay_alu instid0(VALU_DEP_1)
	v_add_co_ci_u32_e64 v34, null, s3, 0, s2
	s_mov_b32 s4, exec_lo
	s_waitcnt vmcnt(0)
	v_cmpx_ge_f32_e32 0x41a00000, v35
	s_cbranch_execz .LBB6_4
; %bb.3:
	v_mul_f32_e32 v36, 0x3fb8aa3b, v35
	v_cmp_ngt_f32_e64 s2, 0xc2ce8ed0, v35
	s_delay_alu instid0(VALU_DEP_2) | instskip(SKIP_1) | instid1(VALU_DEP_2)
	v_rndne_f32_e32 v37, v36
	v_fma_f32 v38, 0x3fb8aa3b, v35, -v36
	v_sub_f32_e32 v36, v36, v37
	s_delay_alu instid0(VALU_DEP_2) | instskip(SKIP_1) | instid1(VALU_DEP_2)
	v_fmamk_f32 v38, v35, 0x32a5705f, v38
	v_cvt_i32_f32_e32 v37, v37
	v_add_f32_e32 v36, v36, v38
	s_delay_alu instid0(VALU_DEP_1) | instskip(SKIP_2) | instid1(VALU_DEP_1)
	v_exp_f32_e32 v36, v36
	s_waitcnt_depctr 0xfff
	v_ldexp_f32 v36, v36, v37
	v_cndmask_b32_e64 v36, 0, v36, s2
	v_cmp_nlt_f32_e64 s2, 0x42b17218, v35
	s_delay_alu instid0(VALU_DEP_1) | instskip(NEXT) | instid1(VALU_DEP_1)
	v_cndmask_b32_e64 v37, 0x7f800000, v36, s2
	v_add_f32_e32 v38, 1.0, v37
	v_cmp_gt_f32_e64 s3, 0x33800000, v37
	s_delay_alu instid0(VALU_DEP_2) | instskip(NEXT) | instid1(VALU_DEP_1)
	v_cvt_f64_f32_e32 v[35:36], v38
	v_frexp_exp_i32_f64_e32 v35, v[35:36]
	v_frexp_mant_f32_e32 v36, v38
	s_delay_alu instid0(VALU_DEP_1) | instskip(SKIP_1) | instid1(VALU_DEP_1)
	v_cmp_gt_f32_e64 s2, 0x3f2aaaab, v36
	v_add_f32_e32 v36, -1.0, v38
	v_sub_f32_e32 v40, v36, v38
	v_sub_f32_e32 v36, v37, v36
	s_delay_alu instid0(VALU_DEP_2) | instskip(NEXT) | instid1(VALU_DEP_1)
	v_add_f32_e32 v40, 1.0, v40
	v_add_f32_e32 v36, v36, v40
	v_subrev_co_ci_u32_e64 v35, s2, 0, v35, s2
	s_mov_b32 s2, 0x3e9b6dac
	s_delay_alu instid0(VALU_DEP_1) | instskip(SKIP_1) | instid1(VALU_DEP_2)
	v_sub_nc_u32_e32 v39, 0, v35
	v_cvt_f32_i32_e32 v35, v35
	v_ldexp_f32 v38, v38, v39
	v_ldexp_f32 v36, v36, v39
	s_delay_alu instid0(VALU_DEP_2) | instskip(NEXT) | instid1(VALU_DEP_1)
	v_add_f32_e32 v47, 1.0, v38
	v_dual_add_f32 v39, -1.0, v38 :: v_dual_add_f32 v40, -1.0, v47
	s_delay_alu instid0(VALU_DEP_1) | instskip(NEXT) | instid1(VALU_DEP_2)
	v_add_f32_e32 v48, 1.0, v39
	v_sub_f32_e32 v40, v38, v40
	s_delay_alu instid0(VALU_DEP_2) | instskip(NEXT) | instid1(VALU_DEP_2)
	v_sub_f32_e32 v38, v38, v48
	v_add_f32_e32 v40, v36, v40
	s_delay_alu instid0(VALU_DEP_2) | instskip(NEXT) | instid1(VALU_DEP_2)
	v_add_f32_e32 v36, v36, v38
	v_add_f32_e32 v48, v47, v40
	s_delay_alu instid0(VALU_DEP_2) | instskip(NEXT) | instid1(VALU_DEP_2)
	v_add_f32_e32 v49, v39, v36
	v_rcp_f32_e32 v38, v48
	v_sub_f32_e32 v47, v47, v48
	s_delay_alu instid0(VALU_DEP_1) | instskip(NEXT) | instid1(VALU_DEP_1)
	v_dual_sub_f32 v39, v39, v49 :: v_dual_add_f32 v40, v40, v47
	v_add_f32_e32 v36, v36, v39
	s_waitcnt_depctr 0xfff
	v_mul_f32_e32 v50, v49, v38
	s_delay_alu instid0(VALU_DEP_1) | instskip(NEXT) | instid1(VALU_DEP_1)
	v_mul_f32_e32 v51, v48, v50
	v_fma_f32 v47, v50, v48, -v51
	s_delay_alu instid0(VALU_DEP_1) | instskip(NEXT) | instid1(VALU_DEP_1)
	v_fmac_f32_e32 v47, v50, v40
	v_add_f32_e32 v52, v51, v47
	s_delay_alu instid0(VALU_DEP_1) | instskip(SKIP_1) | instid1(VALU_DEP_2)
	v_sub_f32_e32 v53, v49, v52
	v_sub_f32_e32 v39, v52, v51
	;; [unrolled: 1-line block ×3, first 2 shown]
	s_delay_alu instid0(VALU_DEP_2) | instskip(NEXT) | instid1(VALU_DEP_2)
	v_sub_f32_e32 v39, v39, v47
	v_sub_f32_e32 v49, v49, v52
	s_delay_alu instid0(VALU_DEP_1) | instskip(NEXT) | instid1(VALU_DEP_1)
	v_add_f32_e32 v36, v36, v49
	v_add_f32_e32 v36, v39, v36
	s_delay_alu instid0(VALU_DEP_1) | instskip(NEXT) | instid1(VALU_DEP_1)
	v_add_f32_e32 v39, v53, v36
	v_mul_f32_e32 v47, v38, v39
	v_sub_f32_e32 v52, v53, v39
	s_delay_alu instid0(VALU_DEP_2) | instskip(NEXT) | instid1(VALU_DEP_2)
	v_mul_f32_e32 v49, v48, v47
	v_add_f32_e32 v36, v36, v52
	s_delay_alu instid0(VALU_DEP_2) | instskip(NEXT) | instid1(VALU_DEP_1)
	v_fma_f32 v48, v47, v48, -v49
	v_fmac_f32_e32 v48, v47, v40
	s_delay_alu instid0(VALU_DEP_1) | instskip(NEXT) | instid1(VALU_DEP_1)
	v_add_f32_e32 v40, v49, v48
	v_sub_f32_e32 v51, v39, v40
	v_sub_f32_e32 v49, v40, v49
	s_delay_alu instid0(VALU_DEP_2) | instskip(NEXT) | instid1(VALU_DEP_1)
	v_sub_f32_e32 v39, v39, v51
	v_sub_f32_e32 v39, v39, v40
	s_delay_alu instid0(VALU_DEP_3) | instskip(NEXT) | instid1(VALU_DEP_2)
	v_sub_f32_e32 v40, v49, v48
	v_add_f32_e32 v36, v36, v39
	s_delay_alu instid0(VALU_DEP_1) | instskip(NEXT) | instid1(VALU_DEP_1)
	v_dual_add_f32 v39, v50, v47 :: v_dual_add_f32 v36, v40, v36
	v_sub_f32_e32 v40, v39, v50
	s_delay_alu instid0(VALU_DEP_2) | instskip(NEXT) | instid1(VALU_DEP_2)
	v_add_f32_e32 v36, v51, v36
	v_sub_f32_e32 v40, v47, v40
	s_delay_alu instid0(VALU_DEP_2) | instskip(NEXT) | instid1(VALU_DEP_1)
	v_mul_f32_e32 v36, v38, v36
	v_add_f32_e32 v36, v40, v36
	s_delay_alu instid0(VALU_DEP_1) | instskip(NEXT) | instid1(VALU_DEP_1)
	v_add_f32_e32 v38, v39, v36
	v_mul_f32_e32 v40, v38, v38
	s_delay_alu instid0(VALU_DEP_1) | instskip(SKIP_2) | instid1(VALU_DEP_3)
	v_fmaak_f32 v47, s2, v40, 0x3ecc95a3
	v_mul_f32_e32 v48, v38, v40
	v_cmp_eq_f32_e64 s2, 0x7f800000, v37
	v_fmaak_f32 v40, v40, v47, 0x3f2aaada
	v_ldexp_f32 v47, v38, 1
	v_sub_f32_e32 v38, v38, v39
	s_delay_alu instid0(VALU_DEP_4) | instskip(NEXT) | instid1(VALU_DEP_3)
	s_or_b32 s2, s3, s2
	v_mul_f32_e32 v40, v48, v40
	v_mul_f32_e32 v48, 0x3f317218, v35
	s_delay_alu instid0(VALU_DEP_2) | instskip(NEXT) | instid1(VALU_DEP_1)
	v_dual_sub_f32 v36, v36, v38 :: v_dual_add_f32 v39, v47, v40
	v_ldexp_f32 v36, v36, 1
	s_delay_alu instid0(VALU_DEP_2) | instskip(NEXT) | instid1(VALU_DEP_4)
	v_sub_f32_e32 v38, v39, v47
	v_fma_f32 v47, 0x3f317218, v35, -v48
	s_delay_alu instid0(VALU_DEP_1) | instskip(NEXT) | instid1(VALU_DEP_1)
	v_dual_sub_f32 v38, v40, v38 :: v_dual_fmamk_f32 v35, v35, 0xb102e308, v47
	v_add_f32_e32 v36, v36, v38
	s_delay_alu instid0(VALU_DEP_2) | instskip(NEXT) | instid1(VALU_DEP_2)
	v_add_f32_e32 v38, v48, v35
	v_add_f32_e32 v40, v39, v36
	s_delay_alu instid0(VALU_DEP_2) | instskip(NEXT) | instid1(VALU_DEP_2)
	v_sub_f32_e32 v48, v38, v48
	v_add_f32_e32 v47, v38, v40
	v_sub_f32_e32 v39, v40, v39
	s_delay_alu instid0(VALU_DEP_3) | instskip(NEXT) | instid1(VALU_DEP_2)
	v_sub_f32_e32 v35, v35, v48
	v_dual_sub_f32 v49, v47, v38 :: v_dual_sub_f32 v36, v36, v39
	s_delay_alu instid0(VALU_DEP_1) | instskip(NEXT) | instid1(VALU_DEP_2)
	v_sub_f32_e32 v50, v47, v49
	v_dual_sub_f32 v39, v40, v49 :: v_dual_add_f32 v40, v35, v36
	s_delay_alu instid0(VALU_DEP_2) | instskip(NEXT) | instid1(VALU_DEP_1)
	v_sub_f32_e32 v38, v38, v50
	v_dual_add_f32 v38, v39, v38 :: v_dual_sub_f32 v39, v40, v35
	s_delay_alu instid0(VALU_DEP_1) | instskip(NEXT) | instid1(VALU_DEP_2)
	v_add_f32_e32 v38, v40, v38
	v_sub_f32_e32 v40, v40, v39
	v_sub_f32_e32 v36, v36, v39
	s_delay_alu instid0(VALU_DEP_3) | instskip(NEXT) | instid1(VALU_DEP_3)
	v_add_f32_e32 v48, v47, v38
	v_sub_f32_e32 v35, v35, v40
	s_delay_alu instid0(VALU_DEP_2) | instskip(NEXT) | instid1(VALU_DEP_2)
	v_sub_f32_e32 v39, v48, v47
	v_add_f32_e32 v35, v36, v35
	s_delay_alu instid0(VALU_DEP_2) | instskip(NEXT) | instid1(VALU_DEP_1)
	v_sub_f32_e32 v36, v38, v39
	v_add_f32_e32 v35, v35, v36
	s_delay_alu instid0(VALU_DEP_1) | instskip(NEXT) | instid1(VALU_DEP_1)
	v_add_f32_e32 v35, v48, v35
	v_cndmask_b32_e64 v35, v35, v37, s2
.LBB6_4:
	s_or_b32 exec_lo, exec_lo, s4
	s_load_b128 s[20:23], s[0:1], 0x70
	s_mul_i32 s0, s14, s7
	s_delay_alu instid0(VALU_DEP_1) | instskip(NEXT) | instid1(VALU_DEP_1)
	v_dual_mov_b32 v52, 0 :: v_dual_mul_f32 v39, v35, v15
	v_dual_mul_f32 v36, v35, v13 :: v_dual_mul_f32 v95, 0x3fb8aa3b, v39
	s_delay_alu instid0(VALU_DEP_1) | instskip(SKIP_1) | instid1(VALU_DEP_3)
	v_dual_mul_f32 v38, v35, v14 :: v_dual_mul_f32 v93, 0x3fb8aa3b, v36
	v_mul_f32_e32 v47, v35, v9
	v_fma_f32 v112, 0x3fb8aa3b, v39, -v95
	s_delay_alu instid0(VALU_DEP_3) | instskip(NEXT) | instid1(VALU_DEP_3)
	v_mul_f32_e32 v94, 0x3fb8aa3b, v38
	v_dual_mul_f32 v40, v35, v16 :: v_dual_mul_f32 v97, 0x3fb8aa3b, v47
	v_mul_f32_e32 v49, v35, v11
	v_rndne_f32_e32 v109, v93
	v_mul_f32_e32 v92, v35, v4
	s_waitcnt lgkmcnt(0)
	s_mul_i32 s1, s14, s23
	s_mul_hi_u32 s2, s14, s22
	s_mul_i32 s3, s14, s22
	s_add_i32 s1, s2, s1
	s_mul_hi_u32 s2, s3, 20
	s_mul_i32 s1, s1, 20
	s_mul_i32 s3, s3, 20
	s_add_i32 s2, s2, s1
	s_add_u32 s1, s30, s3
	s_addc_u32 s3, s31, s2
	s_ashr_i32 s2, s11, 2
	s_add_u32 s0, s18, s0
	s_addc_u32 s4, s19, 0
	s_add_u32 s16, s0, s12
	s_addc_u32 s17, s4, s13
	v_mul_f32_e32 v96, 0x3fb8aa3b, v40
	global_load_b32 v37, v55, s[16:17]
	v_dual_mul_f32 v48, v35, v10 :: v_dual_mul_f32 v99, 0x3fb8aa3b, v49
	v_mul_f32_e32 v51, v35, v5
	ds_load_b128 v[56:59], v52
	ds_load_b128 v[60:63], v52 offset:16
	ds_load_b128 v[64:67], v52 offset:32
	;; [unrolled: 1-line block ×7, first 2 shown]
	v_fma_f32 v52, 0x3fb8aa3b, v36, -v93
	v_mul_f32_e32 v98, 0x3fb8aa3b, v48
	v_dual_mul_f32 v50, v35, v12 :: v_dual_mul_f32 v101, 0x3fb8aa3b, v51
	v_mul_f32_e32 v89, v35, v1
	v_fma_f32 v110, 0x3fb8aa3b, v38, -v94
	v_rndne_f32_e32 v111, v94
	s_delay_alu instid0(VALU_DEP_4) | instskip(NEXT) | instid1(VALU_DEP_4)
	v_mul_f32_e32 v100, 0x3fb8aa3b, v50
	v_dual_mul_f32 v54, v35, v7 :: v_dual_mul_f32 v105, 0x3fb8aa3b, v89
	v_mul_f32_e32 v88, v35, v8
	v_rndne_f32_e32 v121, v99
	v_fmac_f32_e32 v52, 0x32a5705f, v36
	s_delay_alu instid0(VALU_DEP_4) | instskip(NEXT) | instid1(VALU_DEP_4)
	v_mul_f32_e32 v103, 0x3fb8aa3b, v54
	v_dual_mul_f32 v53, v35, v6 :: v_dual_mul_f32 v104, 0x3fb8aa3b, v88
	v_sub_f32_e32 v93, v93, v109
	v_mul_f32_e32 v91, v35, v3
	v_rndne_f32_e32 v113, v95
	s_delay_alu instid0(VALU_DEP_4)
	v_mul_f32_e32 v102, 0x3fb8aa3b, v53
	v_mul_f32_e32 v90, v35, v2
	v_rndne_f32_e32 v115, v96
	v_mul_f32_e32 v107, 0x3fb8aa3b, v91
	v_fma_f32 v120, 0x3fb8aa3b, v49, -v99
	v_rndne_f32_e32 v125, v101
	v_rndne_f32_e32 v129, v103
	v_fmac_f32_e32 v110, 0x32a5705f, v38
	v_dual_sub_f32 v94, v94, v111 :: v_dual_sub_f32 v99, v99, v121
	v_add_f32_e32 v52, v93, v52
	v_dual_mul_f32 v106, 0x3fb8aa3b, v90 :: v_dual_sub_f32 v95, v95, v113
	v_fma_f32 v114, 0x3fb8aa3b, v40, -v96
	v_fma_f32 v124, 0x3fb8aa3b, v51, -v101
	;; [unrolled: 1-line block ×3, first 2 shown]
	v_rndne_f32_e32 v133, v105
	v_dual_fmac_f32 v112, 0x32a5705f, v39 :: v_dual_sub_f32 v101, v101, v125
	v_dual_sub_f32 v103, v103, v129 :: v_dual_sub_f32 v96, v96, v115
	v_add_f32_e32 v93, v94, v110
	v_exp_f32_e32 v52, v52
	v_fma_f32 v116, 0x3fb8aa3b, v47, -v97
	v_rndne_f32_e32 v117, v97
	v_mul_f32_e32 v108, 0x3fb8aa3b, v92
	v_fma_f32 v132, 0x3fb8aa3b, v89, -v105
	v_rndne_f32_e32 v137, v107
	v_dual_fmac_f32 v114, 0x32a5705f, v40 :: v_dual_sub_f32 v105, v105, v133
	v_cvt_i32_f32_e32 v109, v109
	v_add_f32_e32 v94, v95, v112
	v_exp_f32_e32 v93, v93
	v_fma_f32 v118, 0x3fb8aa3b, v48, -v98
	v_rndne_f32_e32 v119, v98
	v_fma_f32 v122, 0x3fb8aa3b, v50, -v100
	v_rndne_f32_e32 v123, v100
	;; [unrolled: 2-line block ×4, first 2 shown]
	v_fma_f32 v136, 0x3fb8aa3b, v91, -v107
	v_sub_f32_e32 v97, v97, v117
	v_fma_f32 v138, 0x3fb8aa3b, v92, -v108
	v_rndne_f32_e32 v139, v108
	v_dual_sub_f32 v107, v107, v137 :: v_dual_fmac_f32 v116, 0x32a5705f, v47
	v_add_f32_e32 v95, v96, v114
	v_cvt_i32_f32_e32 v111, v111
	v_exp_f32_e32 v94, v94
	v_ldexp_f32 v52, v52, v109
	v_cmp_ngt_f32_e64 s0, 0xc2ce8ed0, v36
	v_fmac_f32_e32 v122, 0x32a5705f, v50
	v_sub_f32_e32 v102, v102, v127
	v_fmac_f32_e32 v130, 0x32a5705f, v88
	v_sub_f32_e32 v104, v104, v131
	v_sub_f32_e32 v98, v98, v119
	v_fmac_f32_e32 v138, 0x32a5705f, v92
	v_sub_f32_e32 v108, v108, v139
	v_fmac_f32_e32 v126, 0x32a5705f, v53
	;; [unrolled: 2-line block ×3, first 2 shown]
	v_cvt_i32_f32_e32 v113, v113
	v_add_f32_e32 v96, v97, v116
	v_exp_f32_e32 v95, v95
	v_ldexp_f32 v93, v93, v111
	v_cndmask_b32_e64 v52, 0, v52, s0
	v_cmp_ngt_f32_e64 s0, 0xc2ce8ed0, v38
	v_dual_fmac_f32 v120, 0x32a5705f, v49 :: v_dual_add_f32 v97, v98, v118
	v_cvt_i32_f32_e32 v115, v115
	v_exp_f32_e32 v96, v96
	v_ldexp_f32 v94, v94, v113
	v_cndmask_b32_e64 v93, 0, v93, s0
	v_cmp_ngt_f32_e64 s0, 0xc2ce8ed0, v39
	v_fma_f32 v134, 0x3fb8aa3b, v90, -v106
	v_rndne_f32_e32 v135, v106
	v_cvt_i32_f32_e32 v117, v117
	v_add_f32_e32 v98, v99, v120
	v_exp_f32_e32 v97, v97
	v_ldexp_f32 v95, v95, v115
	v_cndmask_b32_e64 v94, 0, v94, s0
	v_cmp_ngt_f32_e64 s0, 0xc2ce8ed0, v40
	v_fmac_f32_e32 v134, 0x32a5705f, v90
	v_sub_f32_e32 v106, v106, v135
	v_fmac_f32_e32 v124, 0x32a5705f, v51
	v_cvt_i32_f32_e32 v119, v119
	v_add_f32_e32 v99, v100, v122
	v_exp_f32_e32 v98, v98
	v_ldexp_f32 v96, v96, v117
	v_cndmask_b32_e64 v95, 0, v95, s0
	v_cmp_ngt_f32_e64 s0, 0xc2ce8ed0, v47
	v_cvt_i32_f32_e32 v121, v121
	v_add_f32_e32 v100, v101, v124
	v_exp_f32_e32 v99, v99
	v_ldexp_f32 v97, v97, v119
	v_cndmask_b32_e64 v96, 0, v96, s0
	v_cmp_ngt_f32_e64 s0, 0xc2ce8ed0, v48
	v_fmac_f32_e32 v128, 0x32a5705f, v54
	v_cvt_i32_f32_e32 v123, v123
	v_add_f32_e32 v101, v102, v126
	v_exp_f32_e32 v100, v100
	v_ldexp_f32 v98, v98, v121
	v_cndmask_b32_e64 v97, 0, v97, s0
	v_cmp_ngt_f32_e64 s0, 0xc2ce8ed0, v49
	v_cvt_i32_f32_e32 v125, v125
	v_add_f32_e32 v102, v103, v128
	v_exp_f32_e32 v101, v101
	v_ldexp_f32 v99, v99, v123
	v_cndmask_b32_e64 v98, 0, v98, s0
	v_cmp_ngt_f32_e64 s0, 0xc2ce8ed0, v50
	v_fmac_f32_e32 v132, 0x32a5705f, v89
	v_cvt_i32_f32_e32 v127, v127
	v_add_f32_e32 v103, v104, v130
	v_exp_f32_e32 v102, v102
	v_ldexp_f32 v100, v100, v125
	v_cndmask_b32_e64 v99, 0, v99, s0
	v_cmp_ngt_f32_e64 s0, 0xc2ce8ed0, v51
	v_cvt_i32_f32_e32 v129, v129
	v_add_f32_e32 v104, v105, v132
	v_exp_f32_e32 v103, v103
	v_ldexp_f32 v101, v101, v127
	v_cndmask_b32_e64 v100, 0, v100, s0
	v_cmp_ngt_f32_e64 s0, 0xc2ce8ed0, v53
	v_fmac_f32_e32 v136, 0x32a5705f, v91
	v_cvt_i32_f32_e32 v131, v131
	v_add_f32_e32 v105, v106, v134
	v_exp_f32_e32 v104, v104
	v_ldexp_f32 v102, v102, v129
	v_cndmask_b32_e64 v101, 0, v101, s0
	v_cmp_ngt_f32_e64 s0, 0xc2ce8ed0, v54
	v_cvt_i32_f32_e32 v133, v133
	v_add_f32_e32 v106, v107, v136
	v_exp_f32_e32 v105, v105
	v_ldexp_f32 v103, v103, v131
	v_cndmask_b32_e64 v102, 0, v102, s0
	v_cmp_ngt_f32_e64 s0, 0xc2ce8ed0, v88
	v_cvt_i32_f32_e32 v135, v135
	v_exp_f32_e32 v106, v106
	v_ldexp_f32 v104, v104, v133
	v_cvt_i32_f32_e32 v137, v137
	v_cndmask_b32_e64 v103, 0, v103, s0
	v_cmp_ngt_f32_e64 s0, 0xc2ce8ed0, v89
	v_add_f32_e32 v107, v108, v138
	v_ldexp_f32 v105, v105, v135
	v_cvt_i32_f32_e32 v139, v139
	s_delay_alu instid0(VALU_DEP_4) | instskip(SKIP_3) | instid1(VALU_DEP_2)
	v_cndmask_b32_e64 v104, 0, v104, s0
	v_cmp_ngt_f32_e64 s0, 0xc2ce8ed0, v90
	v_exp_f32_e32 v107, v107
	v_ldexp_f32 v106, v106, v137
	v_cndmask_b32_e64 v105, 0, v105, s0
	v_cmp_ngt_f32_e64 s0, 0xc2ce8ed0, v91
	s_waitcnt_depctr 0xfff
	v_ldexp_f32 v107, v107, v139
	s_waitcnt vmcnt(0)
	v_mul_f32_e32 v108, v35, v37
	v_cndmask_b32_e64 v37, 0, v106, s0
	v_cmp_nlt_f32_e64 s0, 0x42b17218, v36
	s_waitcnt lgkmcnt(7)
	s_delay_alu instid0(VALU_DEP_3) | instskip(NEXT) | instid1(VALU_DEP_2)
	v_mul_f32_e32 v35, v108, v56
	v_cndmask_b32_e64 v36, 0x7f800000, v52, s0
	v_cmp_ngt_f32_e64 s0, 0xc2ce8ed0, v92
	s_delay_alu instid0(VALU_DEP_2) | instskip(NEXT) | instid1(VALU_DEP_2)
	v_fmac_f32_e32 v35, v29, v36
	v_cndmask_b32_e64 v52, 0, v107, s0
	v_cmp_nlt_f32_e64 s0, 0x42b17218, v38
	v_mul_f32_e32 v38, v108, v57
	v_mul_f32_e32 v29, v108, v58
	s_delay_alu instid0(VALU_DEP_3) | instskip(SKIP_3) | instid1(VALU_DEP_3)
	v_cndmask_b32_e64 v56, 0x7f800000, v93, s0
	v_cmp_nlt_f32_e64 s0, 0x42b17218, v39
	s_waitcnt lgkmcnt(3)
	v_fma_f32 v39, v72, v35, 0
	v_fmac_f32_e32 v38, v30, v56
	s_delay_alu instid0(VALU_DEP_3) | instskip(SKIP_1) | instid1(VALU_DEP_3)
	v_cndmask_b32_e64 v36, 0x7f800000, v94, s0
	v_cmp_nlt_f32_e64 s0, 0x42b17218, v40
	v_dual_mul_f32 v30, v108, v59 :: v_dual_fmac_f32 v39, v73, v38
	s_delay_alu instid0(VALU_DEP_3) | instskip(NEXT) | instid1(VALU_DEP_3)
	v_fmac_f32_e32 v29, v31, v36
	v_cndmask_b32_e64 v40, 0x7f800000, v95, s0
	v_cmp_nlt_f32_e64 s0, 0x42b17218, v47
	v_mul_f32_e32 v31, v108, v60
	s_delay_alu instid0(VALU_DEP_3) | instskip(NEXT) | instid1(VALU_DEP_3)
	v_dual_fmac_f32 v39, v74, v29 :: v_dual_fmac_f32 v30, v32, v40
	v_cndmask_b32_e64 v36, 0x7f800000, v96, s0
	v_cmp_nlt_f32_e64 s0, 0x42b17218, v48
	s_delay_alu instid0(VALU_DEP_3) | instskip(NEXT) | instid1(VALU_DEP_3)
	v_dual_mul_f32 v32, v108, v61 :: v_dual_fmac_f32 v39, v75, v30
	v_fmac_f32_e32 v31, v25, v36
	s_delay_alu instid0(VALU_DEP_3) | instskip(SKIP_2) | instid1(VALU_DEP_2)
	v_cndmask_b32_e64 v40, 0x7f800000, v97, s0
	v_cmp_nlt_f32_e64 s0, 0x42b17218, v49
	s_waitcnt lgkmcnt(2)
	v_dual_fmac_f32 v39, v76, v31 :: v_dual_fmac_f32 v32, v26, v40
	s_delay_alu instid0(VALU_DEP_2) | instskip(SKIP_1) | instid1(VALU_DEP_3)
	v_cndmask_b32_e64 v36, 0x7f800000, v98, s0
	v_cmp_nlt_f32_e64 s0, 0x42b17218, v50
	v_fmac_f32_e32 v39, v77, v32
	v_mul_f32_e32 v25, v108, v62
	s_delay_alu instid0(VALU_DEP_3) | instskip(SKIP_2) | instid1(VALU_DEP_4)
	v_cndmask_b32_e64 v40, 0x7f800000, v99, s0
	v_mul_f32_e32 v26, v108, v63
	v_cmp_nlt_f32_e64 s0, 0x42b17218, v51
	v_fmac_f32_e32 v25, v27, v36
	v_mul_f32_e32 v27, v108, v64
	s_delay_alu instid0(VALU_DEP_4) | instskip(NEXT) | instid1(VALU_DEP_4)
	v_fmac_f32_e32 v26, v28, v40
	v_cndmask_b32_e64 v36, 0x7f800000, v100, s0
	v_cmp_nlt_f32_e64 s0, 0x42b17218, v53
	v_fmac_f32_e32 v39, v78, v25
	s_delay_alu instid0(VALU_DEP_3) | instskip(NEXT) | instid1(VALU_DEP_3)
	v_dual_mul_f32 v28, v108, v65 :: v_dual_fmac_f32 v27, v21, v36
	v_cndmask_b32_e64 v40, 0x7f800000, v101, s0
	s_delay_alu instid0(VALU_DEP_3) | instskip(SKIP_3) | instid1(VALU_DEP_3)
	v_fmac_f32_e32 v39, v79, v26
	v_cmp_nlt_f32_e64 s0, 0x42b17218, v54
	v_mul_f32_e32 v36, v108, v66
	s_waitcnt lgkmcnt(1)
	v_dual_fmac_f32 v28, v22, v40 :: v_dual_fmac_f32 v39, v80, v27
	s_delay_alu instid0(VALU_DEP_3) | instskip(SKIP_1) | instid1(VALU_DEP_3)
	v_cndmask_b32_e64 v21, 0x7f800000, v102, s0
	v_cmp_nlt_f32_e64 s0, 0x42b17218, v88
	v_dual_mul_f32 v22, v108, v67 :: v_dual_fmac_f32 v39, v81, v28
	s_delay_alu instid0(VALU_DEP_3) | instskip(NEXT) | instid1(VALU_DEP_3)
	v_fmac_f32_e32 v36, v23, v21
	v_cndmask_b32_e64 v40, 0x7f800000, v103, s0
	v_cmp_nlt_f32_e64 s0, 0x42b17218, v89
	v_mul_f32_e32 v23, v108, v68
	s_delay_alu instid0(VALU_DEP_4) | instskip(NEXT) | instid1(VALU_DEP_4)
	v_fmac_f32_e32 v39, v82, v36
	v_fmac_f32_e32 v22, v24, v40
	s_delay_alu instid0(VALU_DEP_4) | instskip(SKIP_1) | instid1(VALU_DEP_3)
	v_cndmask_b32_e64 v21, 0x7f800000, v104, s0
	v_cmp_nlt_f32_e64 s0, 0x42b17218, v90
	v_dual_mul_f32 v24, v108, v69 :: v_dual_fmac_f32 v39, v83, v22
	s_delay_alu instid0(VALU_DEP_3) | instskip(NEXT) | instid1(VALU_DEP_3)
	v_fmac_f32_e32 v23, v17, v21
	v_cndmask_b32_e64 v40, 0x7f800000, v105, s0
	v_cmp_nlt_f32_e64 s0, 0x42b17218, v91
	v_mul_f32_e32 v21, v108, v71
	s_waitcnt lgkmcnt(0)
	s_delay_alu instid0(VALU_DEP_3) | instskip(NEXT) | instid1(VALU_DEP_3)
	v_dual_fmac_f32 v39, v84, v23 :: v_dual_fmac_f32 v24, v18, v40
	v_cndmask_b32_e64 v17, 0x7f800000, v37, s0
	v_mul_f32_e32 v37, v108, v70
	v_cmp_nlt_f32_e64 s0, 0x42b17218, v92
	s_delay_alu instid0(VALU_DEP_4) | instskip(NEXT) | instid1(VALU_DEP_3)
	v_fmac_f32_e32 v39, v85, v24
	v_fmac_f32_e32 v37, v19, v17
	s_delay_alu instid0(VALU_DEP_3) | instskip(SKIP_3) | instid1(VALU_DEP_2)
	v_cndmask_b32_e64 v18, 0x7f800000, v52, s0
	s_add_u32 s0, s1, s12
	s_addc_u32 s1, s3, s13
	v_add_co_u32 v19, s3, s16, v55
	v_fmac_f32_e32 v21, v20, v18
	v_fmac_f32_e32 v39, v86, v37
	v_add_co_u32 v47, s4, s0, v55
	v_add_co_ci_u32_e64 v20, null, s17, 0, s3
	s_delay_alu instid0(VALU_DEP_3)
	v_fmac_f32_e32 v39, v87, v21
	v_add_co_ci_u32_e64 v48, null, s1, 0, s4
	s_ashr_i32 s10, s37, 2
	s_ashr_i32 s3, s2, 31
	;; [unrolled: 1-line block ×3, first 2 shown]
	global_store_b32 v55, v39, s[0:1]
	s_waitcnt_vscnt null, 0x0
	s_barrier
	buffer_gl0_inv
	s_and_saveexec_b32 s1, vcc_lo
	s_cbranch_execz .LBB6_6
; %bb.5:
	s_lshl_b64 s[12:13], s[2:3], 2
	s_delay_alu instid0(SALU_CYCLE_1) | instskip(NEXT) | instid1(VALU_DEP_1)
	v_add_co_u32 v17, s0, v45, s12
	v_add_co_ci_u32_e64 v18, s0, s13, v46, s0
	s_lshl_b64 s[12:13], s[10:11], 2
	s_delay_alu instid0(SALU_CYCLE_1) | instskip(NEXT) | instid1(VALU_DEP_1)
	v_add_co_u32 v39, s0, v43, s12
	v_add_co_ci_u32_e64 v40, s0, s13, v44, s0
	global_load_b32 v17, v[17:18], off
	global_load_b32 v18, v[39:40], off
	s_waitcnt vmcnt(1)
	ds_store_b32 v55, v17
	s_waitcnt vmcnt(0)
	ds_store_b32 v0, v18
.LBB6_6:
	s_or_b32 exec_lo, exec_lo, s1
	s_ashr_i32 s0, s8, 2
	s_waitcnt lgkmcnt(0)
	s_ashr_i32 s1, s0, 31
	s_barrier
	s_lshl_b64 s[8:9], s[0:1], 2
	buffer_gl0_inv
	v_add_co_u32 v17, s0, v33, s8
	s_delay_alu instid0(VALU_DEP_1)
	v_add_co_ci_u32_e64 v18, s0, s9, v34, s0
	s_mov_b32 s4, exec_lo
	global_load_b32 v33, v[17:18], off
	s_waitcnt vmcnt(0)
	v_cmpx_ge_f32_e32 0x41a00000, v33
	s_cbranch_execz .LBB6_8
; %bb.7:
	v_mul_f32_e32 v34, 0x3fb8aa3b, v33
	v_cmp_ngt_f32_e64 s0, 0xc2ce8ed0, v33
	s_delay_alu instid0(VALU_DEP_2) | instskip(SKIP_1) | instid1(VALU_DEP_2)
	v_rndne_f32_e32 v39, v34
	v_fma_f32 v40, 0x3fb8aa3b, v33, -v34
	v_sub_f32_e32 v34, v34, v39
	s_delay_alu instid0(VALU_DEP_2) | instskip(SKIP_1) | instid1(VALU_DEP_2)
	v_fmamk_f32 v40, v33, 0x32a5705f, v40
	v_cvt_i32_f32_e32 v39, v39
	v_add_f32_e32 v34, v34, v40
	s_delay_alu instid0(VALU_DEP_1) | instskip(SKIP_2) | instid1(VALU_DEP_1)
	v_exp_f32_e32 v34, v34
	s_waitcnt_depctr 0xfff
	v_ldexp_f32 v34, v34, v39
	v_cndmask_b32_e64 v34, 0, v34, s0
	v_cmp_nlt_f32_e64 s0, 0x42b17218, v33
	s_delay_alu instid0(VALU_DEP_1) | instskip(NEXT) | instid1(VALU_DEP_1)
	v_cndmask_b32_e64 v39, 0x7f800000, v34, s0
	v_add_f32_e32 v40, 1.0, v39
	v_cmp_gt_f32_e64 s1, 0x33800000, v39
	s_delay_alu instid0(VALU_DEP_2) | instskip(NEXT) | instid1(VALU_DEP_1)
	v_cvt_f64_f32_e32 v[33:34], v40
	v_frexp_exp_i32_f64_e32 v33, v[33:34]
	v_frexp_mant_f32_e32 v34, v40
	s_delay_alu instid0(VALU_DEP_1) | instskip(SKIP_1) | instid1(VALU_DEP_1)
	v_cmp_gt_f32_e64 s0, 0x3f2aaaab, v34
	v_add_f32_e32 v34, -1.0, v40
	v_sub_f32_e32 v50, v34, v40
	v_sub_f32_e32 v34, v39, v34
	s_delay_alu instid0(VALU_DEP_2) | instskip(NEXT) | instid1(VALU_DEP_1)
	v_add_f32_e32 v50, 1.0, v50
	v_add_f32_e32 v34, v34, v50
	v_subrev_co_ci_u32_e64 v33, s0, 0, v33, s0
	s_mov_b32 s0, 0x3e9b6dac
	s_delay_alu instid0(VALU_DEP_1) | instskip(SKIP_1) | instid1(VALU_DEP_2)
	v_sub_nc_u32_e32 v49, 0, v33
	v_cvt_f32_i32_e32 v33, v33
	v_ldexp_f32 v40, v40, v49
	v_ldexp_f32 v34, v34, v49
	s_delay_alu instid0(VALU_DEP_2) | instskip(NEXT) | instid1(VALU_DEP_1)
	v_add_f32_e32 v51, 1.0, v40
	v_dual_add_f32 v49, -1.0, v40 :: v_dual_add_f32 v50, -1.0, v51
	s_delay_alu instid0(VALU_DEP_1) | instskip(NEXT) | instid1(VALU_DEP_2)
	v_add_f32_e32 v52, 1.0, v49
	v_sub_f32_e32 v50, v40, v50
	s_delay_alu instid0(VALU_DEP_2) | instskip(NEXT) | instid1(VALU_DEP_2)
	v_sub_f32_e32 v40, v40, v52
	v_add_f32_e32 v50, v34, v50
	s_delay_alu instid0(VALU_DEP_1) | instskip(NEXT) | instid1(VALU_DEP_3)
	v_add_f32_e32 v52, v51, v50
	v_add_f32_e32 v34, v34, v40
	s_delay_alu instid0(VALU_DEP_2) | instskip(NEXT) | instid1(VALU_DEP_1)
	v_rcp_f32_e32 v40, v52
	v_add_f32_e32 v53, v49, v34
	v_sub_f32_e32 v51, v51, v52
	s_delay_alu instid0(VALU_DEP_1) | instskip(SKIP_3) | instid1(VALU_DEP_2)
	v_dual_sub_f32 v49, v49, v53 :: v_dual_add_f32 v50, v50, v51
	s_waitcnt_depctr 0xfff
	v_mul_f32_e32 v54, v53, v40
	v_add_f32_e32 v34, v34, v49
	v_mul_f32_e32 v56, v52, v54
	s_delay_alu instid0(VALU_DEP_1) | instskip(NEXT) | instid1(VALU_DEP_1)
	v_fma_f32 v51, v54, v52, -v56
	v_fmac_f32_e32 v51, v54, v50
	s_delay_alu instid0(VALU_DEP_1) | instskip(NEXT) | instid1(VALU_DEP_1)
	v_add_f32_e32 v57, v56, v51
	v_sub_f32_e32 v58, v53, v57
	v_sub_f32_e32 v49, v57, v56
	s_delay_alu instid0(VALU_DEP_2) | instskip(NEXT) | instid1(VALU_DEP_2)
	v_sub_f32_e32 v53, v53, v58
	v_sub_f32_e32 v49, v49, v51
	s_delay_alu instid0(VALU_DEP_2) | instskip(NEXT) | instid1(VALU_DEP_1)
	v_sub_f32_e32 v53, v53, v57
	v_add_f32_e32 v34, v34, v53
	s_delay_alu instid0(VALU_DEP_1) | instskip(NEXT) | instid1(VALU_DEP_1)
	v_add_f32_e32 v34, v49, v34
	v_add_f32_e32 v49, v58, v34
	s_delay_alu instid0(VALU_DEP_1) | instskip(SKIP_1) | instid1(VALU_DEP_1)
	v_mul_f32_e32 v51, v40, v49
	v_sub_f32_e32 v57, v58, v49
	v_dual_mul_f32 v53, v52, v51 :: v_dual_add_f32 v34, v34, v57
	s_delay_alu instid0(VALU_DEP_1) | instskip(NEXT) | instid1(VALU_DEP_1)
	v_fma_f32 v52, v51, v52, -v53
	v_fmac_f32_e32 v52, v51, v50
	s_delay_alu instid0(VALU_DEP_1) | instskip(NEXT) | instid1(VALU_DEP_1)
	v_add_f32_e32 v50, v53, v52
	v_dual_sub_f32 v56, v49, v50 :: v_dual_sub_f32 v53, v50, v53
	s_delay_alu instid0(VALU_DEP_1) | instskip(NEXT) | instid1(VALU_DEP_1)
	v_sub_f32_e32 v49, v49, v56
	v_sub_f32_e32 v49, v49, v50
	s_delay_alu instid0(VALU_DEP_3) | instskip(NEXT) | instid1(VALU_DEP_2)
	v_sub_f32_e32 v50, v53, v52
	v_add_f32_e32 v34, v34, v49
	v_add_f32_e32 v49, v54, v51
	s_delay_alu instid0(VALU_DEP_2) | instskip(NEXT) | instid1(VALU_DEP_2)
	v_add_f32_e32 v34, v50, v34
	v_sub_f32_e32 v50, v49, v54
	s_delay_alu instid0(VALU_DEP_2) | instskip(NEXT) | instid1(VALU_DEP_2)
	v_add_f32_e32 v34, v56, v34
	v_sub_f32_e32 v50, v51, v50
	s_delay_alu instid0(VALU_DEP_2) | instskip(NEXT) | instid1(VALU_DEP_1)
	v_mul_f32_e32 v34, v40, v34
	v_add_f32_e32 v34, v50, v34
	s_delay_alu instid0(VALU_DEP_1) | instskip(NEXT) | instid1(VALU_DEP_1)
	v_add_f32_e32 v40, v49, v34
	v_mul_f32_e32 v50, v40, v40
	s_delay_alu instid0(VALU_DEP_1) | instskip(SKIP_2) | instid1(VALU_DEP_3)
	v_fmaak_f32 v51, s0, v50, 0x3ecc95a3
	v_mul_f32_e32 v52, v40, v50
	v_cmp_eq_f32_e64 s0, 0x7f800000, v39
	v_fmaak_f32 v50, v50, v51, 0x3f2aaada
	v_ldexp_f32 v51, v40, 1
	v_sub_f32_e32 v40, v40, v49
	s_delay_alu instid0(VALU_DEP_4) | instskip(NEXT) | instid1(VALU_DEP_3)
	s_or_b32 s0, s1, s0
	v_mul_f32_e32 v50, v52, v50
	v_mul_f32_e32 v52, 0x3f317218, v33
	s_delay_alu instid0(VALU_DEP_2) | instskip(NEXT) | instid1(VALU_DEP_1)
	v_dual_sub_f32 v34, v34, v40 :: v_dual_add_f32 v49, v51, v50
	v_ldexp_f32 v34, v34, 1
	s_delay_alu instid0(VALU_DEP_2) | instskip(NEXT) | instid1(VALU_DEP_4)
	v_sub_f32_e32 v40, v49, v51
	v_fma_f32 v51, 0x3f317218, v33, -v52
	s_delay_alu instid0(VALU_DEP_1) | instskip(NEXT) | instid1(VALU_DEP_1)
	v_dual_sub_f32 v40, v50, v40 :: v_dual_fmamk_f32 v33, v33, 0xb102e308, v51
	v_add_f32_e32 v34, v34, v40
	s_delay_alu instid0(VALU_DEP_2) | instskip(NEXT) | instid1(VALU_DEP_2)
	v_add_f32_e32 v40, v52, v33
	v_add_f32_e32 v50, v49, v34
	s_delay_alu instid0(VALU_DEP_2) | instskip(NEXT) | instid1(VALU_DEP_2)
	v_sub_f32_e32 v52, v40, v52
	v_add_f32_e32 v51, v40, v50
	v_sub_f32_e32 v49, v50, v49
	s_delay_alu instid0(VALU_DEP_3) | instskip(NEXT) | instid1(VALU_DEP_2)
	v_sub_f32_e32 v33, v33, v52
	v_dual_sub_f32 v53, v51, v40 :: v_dual_sub_f32 v34, v34, v49
	s_delay_alu instid0(VALU_DEP_1) | instskip(NEXT) | instid1(VALU_DEP_2)
	v_sub_f32_e32 v54, v51, v53
	v_dual_sub_f32 v49, v50, v53 :: v_dual_add_f32 v50, v33, v34
	s_delay_alu instid0(VALU_DEP_2) | instskip(NEXT) | instid1(VALU_DEP_1)
	v_sub_f32_e32 v40, v40, v54
	v_dual_add_f32 v40, v49, v40 :: v_dual_sub_f32 v49, v50, v33
	s_delay_alu instid0(VALU_DEP_1) | instskip(NEXT) | instid1(VALU_DEP_2)
	v_add_f32_e32 v40, v50, v40
	v_sub_f32_e32 v50, v50, v49
	v_sub_f32_e32 v34, v34, v49
	s_delay_alu instid0(VALU_DEP_2) | instskip(NEXT) | instid1(VALU_DEP_1)
	v_dual_add_f32 v52, v51, v40 :: v_dual_sub_f32 v33, v33, v50
	v_sub_f32_e32 v49, v52, v51
	s_delay_alu instid0(VALU_DEP_2) | instskip(NEXT) | instid1(VALU_DEP_2)
	v_add_f32_e32 v33, v34, v33
	v_sub_f32_e32 v34, v40, v49
	s_delay_alu instid0(VALU_DEP_1) | instskip(NEXT) | instid1(VALU_DEP_1)
	v_add_f32_e32 v33, v33, v34
	v_add_f32_e32 v33, v52, v33
	s_delay_alu instid0(VALU_DEP_1)
	v_cndmask_b32_e64 v33, v33, v39, s0
.LBB6_8:
	s_or_b32 exec_lo, exec_lo, s4
	s_ashr_i32 s0, s6, 2
	s_delay_alu instid0(VALU_DEP_1)
	v_dual_mov_b32 v52, 0 :: v_dual_mul_f32 v49, v33, v15
	s_ashr_i32 s1, s0, 31
	v_mul_f32_e32 v40, v33, v14
	s_lshl_b64 s[6:7], s[0:1], 2
	s_bfe_i64 s[16:17], s[22:23], 0x200000
	v_mul_f32_e32 v99, 0x3fb8aa3b, v49
	v_add_co_u32 v19, s0, v19, s6
	s_delay_alu instid0(VALU_DEP_1) | instskip(NEXT) | instid1(VALU_DEP_3)
	v_add_co_ci_u32_e64 v20, s0, s7, v20, s0
	v_rndne_f32_e32 v117, v99
	v_mul_f32_e32 v96, v33, v3
	v_fma_f32 v116, 0x3fb8aa3b, v49, -v99
	global_load_b32 v39, v[19:20], off
	v_dual_mul_f32 v51, v33, v9 :: v_dual_mul_f32 v98, 0x3fb8aa3b, v40
	v_sub_f32_e32 v99, v99, v117
	v_dual_mul_f32 v94, v33, v1 :: v_dual_mul_f32 v111, 0x3fb8aa3b, v96
	v_mul_f32_e32 v92, v33, v7
	s_delay_alu instid0(VALU_DEP_4) | instskip(NEXT) | instid1(VALU_DEP_3)
	v_dual_mul_f32 v34, v33, v13 :: v_dual_mul_f32 v101, 0x3fb8aa3b, v51
	v_dual_mul_f32 v109, 0x3fb8aa3b, v94 :: v_dual_mul_f32 v90, v33, v5
	s_delay_alu instid0(VALU_DEP_3) | instskip(NEXT) | instid1(VALU_DEP_3)
	v_dual_mul_f32 v107, 0x3fb8aa3b, v92 :: v_dual_mul_f32 v54, v33, v11
	v_dual_mul_f32 v50, v33, v16 :: v_dual_mul_f32 v69, 0x3fb8aa3b, v34
	s_delay_alu instid0(VALU_DEP_3) | instskip(NEXT) | instid1(VALU_DEP_3)
	v_dual_mul_f32 v105, 0x3fb8aa3b, v90 :: v_dual_mul_f32 v68, v33, v12
	v_mul_f32_e32 v103, 0x3fb8aa3b, v54
	v_mul_f32_e32 v53, v33, v10
	ds_load_b128 v[56:59], v52
	ds_load_b128 v[60:63], v52 offset:16
	ds_load_b128 v[64:67], v52 offset:32
	;; [unrolled: 1-line block ×5, first 2 shown]
	v_dual_mul_f32 v104, 0x3fb8aa3b, v68 :: v_dual_mul_f32 v91, v33, v6
	v_dual_mul_f32 v102, 0x3fb8aa3b, v53 :: v_dual_mul_f32 v95, v33, v2
	ds_load_b128 v[82:85], v52 offset:96
	ds_load_b128 v[86:89], v52 offset:112
	v_fma_f32 v52, 0x3fb8aa3b, v34, -v69
	v_mul_f32_e32 v106, 0x3fb8aa3b, v91
	v_rndne_f32_e32 v113, v69
	v_dual_mul_f32 v93, v33, v8 :: v_dual_mul_f32 v100, 0x3fb8aa3b, v50
	v_mul_f32_e32 v110, 0x3fb8aa3b, v95
	v_fma_f32 v114, 0x3fb8aa3b, v40, -v98
	s_delay_alu instid0(VALU_DEP_4)
	v_sub_f32_e32 v69, v69, v113
	v_rndne_f32_e32 v115, v98
	v_rndne_f32_e32 v121, v101
	v_dual_fmac_f32 v52, 0x32a5705f, v34 :: v_dual_mul_f32 v97, v33, v4
	v_mul_f32_e32 v108, 0x3fb8aa3b, v93
	v_fma_f32 v118, 0x3fb8aa3b, v50, -v100
	v_rndne_f32_e32 v119, v100
	v_fma_f32 v120, 0x3fb8aa3b, v51, -v101
	v_rndne_f32_e32 v125, v103
	v_rndne_f32_e32 v129, v105
	;; [unrolled: 1-line block ×4, first 2 shown]
	v_fmac_f32_e32 v114, 0x32a5705f, v40
	v_dual_sub_f32 v98, v98, v115 :: v_dual_sub_f32 v101, v101, v121
	v_add_f32_e32 v52, v69, v52
	v_fma_f32 v124, 0x3fb8aa3b, v54, -v103
	v_fma_f32 v128, 0x3fb8aa3b, v90, -v105
	;; [unrolled: 1-line block ×4, first 2 shown]
	v_dual_fmac_f32 v118, 0x32a5705f, v50 :: v_dual_sub_f32 v107, v107, v133
	v_dual_sub_f32 v100, v100, v119 :: v_dual_sub_f32 v109, v109, v137
	v_fmac_f32_e32 v116, 0x32a5705f, v49
	v_sub_f32_e32 v103, v103, v125
	v_sub_f32_e32 v105, v105, v129
	v_dual_mul_f32 v112, 0x3fb8aa3b, v97 :: v_dual_add_f32 v69, v98, v114
	v_exp_f32_e32 v52, v52
	v_fmac_f32_e32 v124, 0x32a5705f, v54
	v_cvt_i32_f32_e32 v113, v113
	v_fma_f32 v122, 0x3fb8aa3b, v53, -v102
	v_exp_f32_e32 v69, v69
	v_rndne_f32_e32 v123, v102
	v_fma_f32 v126, 0x3fb8aa3b, v68, -v104
	v_rndne_f32_e32 v127, v104
	v_fma_f32 v130, 0x3fb8aa3b, v91, -v106
	;; [unrolled: 2-line block ×4, first 2 shown]
	v_rndne_f32_e32 v139, v110
	v_rndne_f32_e32 v141, v111
	v_fma_f32 v142, 0x3fb8aa3b, v97, -v112
	v_rndne_f32_e32 v143, v112
	v_fmac_f32_e32 v120, 0x32a5705f, v51
	v_cvt_i32_f32_e32 v115, v115
	v_ldexp_f32 v52, v52, v113
	v_cmp_ngt_f32_e64 s0, 0xc2ce8ed0, v34
	v_fma_f32 v140, 0x3fb8aa3b, v96, -v111
	v_sub_f32_e32 v111, v111, v141
	v_fmac_f32_e32 v134, 0x32a5705f, v93
	v_sub_f32_e32 v108, v108, v135
	v_sub_f32_e32 v102, v102, v123
	v_fmac_f32_e32 v126, 0x32a5705f, v68
	v_fmac_f32_e32 v138, 0x32a5705f, v95
	;; [unrolled: 1-line block ×3, first 2 shown]
	v_sub_f32_e32 v112, v112, v143
	v_sub_f32_e32 v106, v106, v131
	v_cvt_i32_f32_e32 v117, v117
	v_ldexp_f32 v69, v69, v115
	v_cndmask_b32_e64 v52, 0, v52, s0
	v_cmp_ngt_f32_e64 s0, 0xc2ce8ed0, v40
	v_cvt_i32_f32_e32 v119, v119
	v_cvt_i32_f32_e32 v121, v121
	;; [unrolled: 1-line block ×4, first 2 shown]
	v_cndmask_b32_e64 v69, 0, v69, s0
	v_cmp_ngt_f32_e64 s0, 0xc2ce8ed0, v49
	v_cvt_i32_f32_e32 v129, v129
	v_fmac_f32_e32 v136, 0x32a5705f, v94
	v_cvt_i32_f32_e32 v131, v131
	v_cvt_i32_f32_e32 v133, v133
	v_fmac_f32_e32 v140, 0x32a5705f, v96
	v_cvt_i32_f32_e32 v135, v135
	v_cvt_i32_f32_e32 v137, v137
	;; [unrolled: 1-line block ×4, first 2 shown]
	s_mov_b32 s12, 0
	s_waitcnt vmcnt(0)
	v_dual_mul_f32 v33, v33, v39 :: v_dual_add_f32 v98, v99, v116
	v_dual_add_f32 v99, v100, v118 :: v_dual_sub_f32 v110, v110, v139
	v_fmac_f32_e32 v130, 0x32a5705f, v91
	v_sub_f32_e32 v104, v104, v127
	s_delay_alu instid0(VALU_DEP_4) | instskip(SKIP_4) | instid1(VALU_DEP_3)
	v_exp_f32_e32 v98, v98
	v_fmac_f32_e32 v122, 0x32a5705f, v53
	v_add_f32_e32 v100, v101, v120
	v_exp_f32_e32 v99, v99
	v_fmac_f32_e32 v128, 0x32a5705f, v90
	v_dual_fmac_f32 v132, 0x32a5705f, v92 :: v_dual_add_f32 v101, v102, v122
	s_delay_alu instid0(VALU_DEP_3) | instskip(SKIP_1) | instid1(TRANS32_DEP_3)
	v_exp_f32_e32 v100, v100
	v_dual_add_f32 v102, v103, v124 :: v_dual_add_f32 v103, v104, v126
	v_ldexp_f32 v98, v98, v117
	s_delay_alu instid0(VALU_DEP_3) | instskip(SKIP_1) | instid1(TRANS32_DEP_3)
	v_exp_f32_e32 v101, v101
	v_add_f32_e32 v104, v105, v128
	v_ldexp_f32 v99, v99, v119
	v_exp_f32_e32 v102, v102
	v_cndmask_b32_e64 v98, 0, v98, s0
	v_cmp_ngt_f32_e64 s0, 0xc2ce8ed0, v50
	s_delay_alu instid0(TRANS32_DEP_3)
	v_ldexp_f32 v100, v100, v121
	v_exp_f32_e32 v103, v103
	v_cvt_i32_f32_e32 v127, v127
	v_add_f32_e32 v105, v106, v130
	v_cndmask_b32_e64 v99, 0, v99, s0
	v_cmp_ngt_f32_e64 s0, 0xc2ce8ed0, v51
	v_ldexp_f32 v101, v101, v123
	v_exp_f32_e32 v104, v104
	v_ldexp_f32 v102, v102, v125
	v_add_f32_e32 v106, v107, v132
	v_cndmask_b32_e64 v100, 0, v100, s0
	v_cmp_ngt_f32_e64 s0, 0xc2ce8ed0, v53
	v_exp_f32_e32 v105, v105
	v_ldexp_f32 v103, v103, v127
	v_add_f32_e32 v107, v108, v134
	v_exp_f32_e32 v106, v106
	v_cndmask_b32_e64 v101, 0, v101, s0
	v_cmp_ngt_f32_e64 s0, 0xc2ce8ed0, v54
	v_ldexp_f32 v104, v104, v129
	v_add_f32_e32 v108, v109, v136
	v_exp_f32_e32 v107, v107
	v_add_f32_e32 v109, v110, v138
	v_cndmask_b32_e64 v102, 0, v102, s0
	v_cmp_ngt_f32_e64 s0, 0xc2ce8ed0, v68
	v_ldexp_f32 v105, v105, v131
	v_exp_f32_e32 v108, v108
	v_ldexp_f32 v106, v106, v133
	v_add_f32_e32 v110, v111, v140
	v_cndmask_b32_e64 v103, 0, v103, s0
	v_cmp_ngt_f32_e64 s0, 0xc2ce8ed0, v90
	v_exp_f32_e32 v109, v109
	v_ldexp_f32 v107, v107, v135
	v_cvt_i32_f32_e32 v139, v139
	v_exp_f32_e32 v110, v110
	v_cndmask_b32_e64 v104, 0, v104, s0
	v_cmp_ngt_f32_e64 s0, 0xc2ce8ed0, v91
	v_ldexp_f32 v108, v108, v137
	v_add_f32_e32 v111, v112, v142
	s_delay_alu instid0(VALU_DEP_3) | instskip(SKIP_2) | instid1(VALU_DEP_4)
	v_cndmask_b32_e64 v105, 0, v105, s0
	v_cmp_ngt_f32_e64 s0, 0xc2ce8ed0, v92
	v_ldexp_f32 v109, v109, v139
	v_exp_f32_e32 v111, v111
	s_delay_alu instid0(TRANS32_DEP_2) | instskip(NEXT) | instid1(VALU_DEP_3)
	v_ldexp_f32 v110, v110, v141
	v_cndmask_b32_e64 v106, 0, v106, s0
	v_cmp_ngt_f32_e64 s0, 0xc2ce8ed0, v93
	s_delay_alu instid0(VALU_DEP_1)
	v_cndmask_b32_e64 v107, 0, v107, s0
	v_cmp_ngt_f32_e64 s0, 0xc2ce8ed0, v94
	s_waitcnt_depctr 0xfff
	v_ldexp_f32 v111, v111, v143
	v_cndmask_b32_e64 v108, 0, v108, s0
	v_cmp_ngt_f32_e64 s0, 0xc2ce8ed0, v95
	s_delay_alu instid0(VALU_DEP_1) | instskip(SKIP_1) | instid1(VALU_DEP_1)
	v_cndmask_b32_e64 v109, 0, v109, s0
	v_cmp_ngt_f32_e64 s0, 0xc2ce8ed0, v96
	v_cndmask_b32_e64 v39, 0, v110, s0
	v_cmp_nlt_f32_e64 s0, 0x42b17218, v34
	s_delay_alu instid0(VALU_DEP_1) | instskip(SKIP_4) | instid1(VALU_DEP_3)
	v_cndmask_b32_e64 v34, 0x7f800000, v52, s0
	v_cmp_ngt_f32_e64 s0, 0xc2ce8ed0, v97
	s_waitcnt lgkmcnt(7)
	v_mul_f32_e32 v52, v33, v56
	v_mul_f32_e32 v56, v33, v58
	v_cndmask_b32_e64 v110, 0, v111, s0
	v_cmp_nlt_f32_e64 s0, 0x42b17218, v40
	s_delay_alu instid0(VALU_DEP_4) | instskip(NEXT) | instid1(VALU_DEP_2)
	v_fmac_f32_e32 v52, v35, v34
	v_cndmask_b32_e64 v40, 0x7f800000, v69, s0
	v_cmp_nlt_f32_e64 s0, 0x42b17218, v49
	v_mul_f32_e32 v69, v33, v57
	v_mul_f32_e32 v57, v33, v59
	s_waitcnt lgkmcnt(6)
	v_mul_f32_e32 v59, v33, v61
	v_mul_f32_e32 v61, v33, v63
	v_cndmask_b32_e64 v34, 0x7f800000, v98, s0
	v_cmp_nlt_f32_e64 s0, 0x42b17218, v50
	v_fmac_f32_e32 v69, v38, v40
	s_waitcnt lgkmcnt(5)
	v_mul_f32_e32 v63, v33, v65
	v_mul_f32_e32 v65, v33, v67
	v_fmac_f32_e32 v56, v29, v34
	v_cndmask_b32_e64 v38, 0x7f800000, v99, s0
	v_cmp_nlt_f32_e64 s0, 0x42b17218, v51
	v_mul_f32_e32 v58, v33, v60
	v_mul_f32_e32 v60, v33, v62
	s_waitcnt lgkmcnt(3)
	v_fma_f32 v35, v74, v52, 0
	v_fmac_f32_e32 v57, v30, v38
	v_cndmask_b32_e64 v29, 0x7f800000, v100, s0
	v_cmp_nlt_f32_e64 s0, 0x42b17218, v53
	v_mul_f32_e32 v67, v33, v71
	v_dual_fmac_f32 v35, v75, v69 :: v_dual_mul_f32 v62, v33, v64
	s_delay_alu instid0(VALU_DEP_4) | instskip(NEXT) | instid1(VALU_DEP_4)
	v_fmac_f32_e32 v58, v31, v29
	v_cndmask_b32_e64 v30, 0x7f800000, v101, s0
	v_cmp_nlt_f32_e64 s0, 0x42b17218, v54
	s_delay_alu instid0(VALU_DEP_4)
	v_fmac_f32_e32 v35, v76, v56
	v_mul_f32_e32 v51, v33, v73
	v_mul_f32_e32 v64, v33, v66
	v_fmac_f32_e32 v59, v32, v30
	v_cndmask_b32_e64 v29, 0x7f800000, v102, s0
	v_cmp_nlt_f32_e64 s0, 0x42b17218, v68
	v_fmac_f32_e32 v35, v77, v57
	v_mul_f32_e32 v66, v33, v70
	v_mul_f32_e32 v68, v33, v72
	v_fmac_f32_e32 v60, v25, v29
	v_cndmask_b32_e64 v30, 0x7f800000, v103, s0
	v_cmp_nlt_f32_e64 s0, 0x42b17218, v90
	s_waitcnt lgkmcnt(2)
	v_fmac_f32_e32 v35, v78, v58
	s_delay_alu instid0(VALU_DEP_3) | instskip(NEXT) | instid1(VALU_DEP_3)
	v_fmac_f32_e32 v61, v26, v30
	v_cndmask_b32_e64 v25, 0x7f800000, v104, s0
	v_cmp_nlt_f32_e64 s0, 0x42b17218, v91
	s_delay_alu instid0(VALU_DEP_4) | instskip(NEXT) | instid1(VALU_DEP_3)
	v_fmac_f32_e32 v35, v79, v59
	v_fmac_f32_e32 v62, v27, v25
	s_delay_alu instid0(VALU_DEP_3) | instskip(SKIP_1) | instid1(VALU_DEP_2)
	v_cndmask_b32_e64 v26, 0x7f800000, v105, s0
	v_cmp_nlt_f32_e64 s0, 0x42b17218, v92
	v_fmac_f32_e32 v63, v28, v26
	s_delay_alu instid0(VALU_DEP_2) | instskip(SKIP_1) | instid1(VALU_DEP_2)
	v_cndmask_b32_e64 v25, 0x7f800000, v106, s0
	v_cmp_nlt_f32_e64 s0, 0x42b17218, v93
	v_fmac_f32_e32 v64, v36, v25
	s_delay_alu instid0(VALU_DEP_2) | instskip(SKIP_1) | instid1(VALU_DEP_2)
	;; [unrolled: 4-line block ×4, first 2 shown]
	v_cndmask_b32_e64 v22, 0x7f800000, v109, s0
	v_cmp_nlt_f32_e64 s0, 0x42b17218, v96
	v_fmac_f32_e32 v67, v24, v22
	v_fmac_f32_e32 v35, v80, v60
	s_delay_alu instid0(VALU_DEP_3) | instskip(SKIP_1) | instid1(VALU_DEP_3)
	v_cndmask_b32_e64 v23, 0x7f800000, v39, s0
	v_cmp_nlt_f32_e64 s0, 0x42b17218, v97
	v_fmac_f32_e32 v35, v81, v61
	s_delay_alu instid0(VALU_DEP_3) | instskip(NEXT) | instid1(VALU_DEP_3)
	v_fmac_f32_e32 v68, v37, v23
	v_cndmask_b32_e64 v22, 0x7f800000, v110, s0
	s_lshl_b64 s[0:1], s[16:17], 2
	s_delay_alu instid0(VALU_DEP_1) | instskip(SKIP_3) | instid1(VALU_DEP_1)
	v_fmac_f32_e32 v51, v21, v22
	s_waitcnt lgkmcnt(1)
	v_fmac_f32_e32 v35, v82, v62
	v_add_co_u32 v21, s0, v47, s0
	v_add_co_ci_u32_e64 v22, s0, s1, v48, s0
	s_delay_alu instid0(VALU_DEP_3) | instskip(NEXT) | instid1(VALU_DEP_1)
	v_fmac_f32_e32 v35, v83, v63
	v_fmac_f32_e32 v35, v84, v64
	s_delay_alu instid0(VALU_DEP_1) | instskip(SKIP_1) | instid1(VALU_DEP_1)
	v_fmac_f32_e32 v35, v85, v65
	s_waitcnt lgkmcnt(0)
	v_fmac_f32_e32 v35, v86, v66
	s_delay_alu instid0(VALU_DEP_1) | instskip(NEXT) | instid1(VALU_DEP_1)
	v_fmac_f32_e32 v35, v87, v67
	v_fmac_f32_e32 v35, v88, v68
	s_delay_alu instid0(VALU_DEP_1)
	v_fmac_f32_e32 v35, v89, v51
	global_store_b32 v[21:22], v35, off
	s_waitcnt_vscnt null, 0x0
	s_barrier
	buffer_gl0_inv
	s_and_saveexec_b32 s1, vcc_lo
	s_cbranch_execz .LBB6_10
; %bb.9:
	s_lshl_b64 s[18:19], s[2:3], 3
	s_delay_alu instid0(SALU_CYCLE_1) | instskip(NEXT) | instid1(VALU_DEP_1)
	v_add_co_u32 v21, s0, v45, s18
	v_add_co_ci_u32_e64 v22, s0, s19, v46, s0
	s_lshl_b64 s[18:19], s[10:11], 3
	s_delay_alu instid0(SALU_CYCLE_1) | instskip(NEXT) | instid1(VALU_DEP_1)
	v_add_co_u32 v23, s0, v43, s18
	v_add_co_ci_u32_e64 v24, s0, s19, v44, s0
	global_load_b32 v21, v[21:22], off
	global_load_b32 v22, v[23:24], off
	s_waitcnt vmcnt(1)
	ds_store_b32 v55, v21
	s_waitcnt vmcnt(0)
	ds_store_b32 v0, v22
.LBB6_10:
	s_or_b32 exec_lo, exec_lo, s1
	v_add_co_u32 v49, s0, v17, s8
	s_delay_alu instid0(VALU_DEP_1)
	v_add_co_ci_u32_e64 v50, s0, s9, v18, s0
	s_waitcnt lgkmcnt(0)
	s_barrier
	buffer_gl0_inv
	global_load_b32 v70, v[49:50], off
	s_mov_b32 s13, s22
	s_mov_b32 s4, exec_lo
	s_waitcnt vmcnt(0)
	v_cmpx_ge_f32_e32 0x41a00000, v70
	s_cbranch_execz .LBB6_12
; %bb.11:
	v_mul_f32_e32 v17, 0x3fb8aa3b, v70
	v_cmp_ngt_f32_e64 s0, 0xc2ce8ed0, v70
	s_delay_alu instid0(VALU_DEP_2) | instskip(SKIP_1) | instid1(VALU_DEP_2)
	v_rndne_f32_e32 v18, v17
	v_fma_f32 v21, 0x3fb8aa3b, v70, -v17
	v_sub_f32_e32 v17, v17, v18
	s_delay_alu instid0(VALU_DEP_2) | instskip(SKIP_1) | instid1(VALU_DEP_2)
	v_fmamk_f32 v21, v70, 0x32a5705f, v21
	v_cvt_i32_f32_e32 v18, v18
	v_add_f32_e32 v17, v17, v21
	s_delay_alu instid0(VALU_DEP_1) | instskip(SKIP_2) | instid1(VALU_DEP_1)
	v_exp_f32_e32 v17, v17
	s_waitcnt_depctr 0xfff
	v_ldexp_f32 v17, v17, v18
	v_cndmask_b32_e64 v17, 0, v17, s0
	v_cmp_nlt_f32_e64 s0, 0x42b17218, v70
	s_delay_alu instid0(VALU_DEP_1) | instskip(NEXT) | instid1(VALU_DEP_1)
	v_cndmask_b32_e64 v21, 0x7f800000, v17, s0
	v_add_f32_e32 v22, 1.0, v21
	v_cmp_gt_f32_e64 s1, 0x33800000, v21
	s_delay_alu instid0(VALU_DEP_2) | instskip(NEXT) | instid1(VALU_DEP_1)
	v_cvt_f64_f32_e32 v[17:18], v22
	v_frexp_exp_i32_f64_e32 v17, v[17:18]
	v_frexp_mant_f32_e32 v18, v22
	s_delay_alu instid0(VALU_DEP_1) | instskip(SKIP_1) | instid1(VALU_DEP_1)
	v_cmp_gt_f32_e64 s0, 0x3f2aaaab, v18
	v_add_f32_e32 v18, -1.0, v22
	v_sub_f32_e32 v24, v18, v22
	v_sub_f32_e32 v18, v21, v18
	s_delay_alu instid0(VALU_DEP_2) | instskip(NEXT) | instid1(VALU_DEP_1)
	v_add_f32_e32 v24, 1.0, v24
	v_add_f32_e32 v18, v18, v24
	v_subrev_co_ci_u32_e64 v17, s0, 0, v17, s0
	s_mov_b32 s0, 0x3e9b6dac
	s_delay_alu instid0(VALU_DEP_1) | instskip(SKIP_1) | instid1(VALU_DEP_2)
	v_sub_nc_u32_e32 v23, 0, v17
	v_cvt_f32_i32_e32 v17, v17
	v_ldexp_f32 v22, v22, v23
	v_ldexp_f32 v18, v18, v23
	s_delay_alu instid0(VALU_DEP_2) | instskip(NEXT) | instid1(VALU_DEP_1)
	v_add_f32_e32 v25, 1.0, v22
	v_dual_add_f32 v23, -1.0, v22 :: v_dual_add_f32 v24, -1.0, v25
	s_delay_alu instid0(VALU_DEP_1) | instskip(NEXT) | instid1(VALU_DEP_2)
	v_add_f32_e32 v26, 1.0, v23
	v_sub_f32_e32 v24, v22, v24
	s_delay_alu instid0(VALU_DEP_2) | instskip(NEXT) | instid1(VALU_DEP_2)
	v_sub_f32_e32 v22, v22, v26
	v_add_f32_e32 v24, v18, v24
	s_delay_alu instid0(VALU_DEP_2) | instskip(NEXT) | instid1(VALU_DEP_1)
	v_add_f32_e32 v18, v18, v22
	v_dual_add_f32 v27, v23, v18 :: v_dual_add_f32 v26, v25, v24
	s_delay_alu instid0(VALU_DEP_1) | instskip(NEXT) | instid1(VALU_DEP_2)
	v_sub_f32_e32 v23, v23, v27
	v_rcp_f32_e32 v22, v26
	v_sub_f32_e32 v25, v25, v26
	s_delay_alu instid0(VALU_DEP_1) | instskip(SKIP_2) | instid1(VALU_DEP_1)
	v_add_f32_e32 v24, v24, v25
	s_waitcnt_depctr 0xfff
	v_mul_f32_e32 v28, v27, v22
	v_mul_f32_e32 v29, v26, v28
	s_delay_alu instid0(VALU_DEP_1) | instskip(NEXT) | instid1(VALU_DEP_1)
	v_fma_f32 v25, v28, v26, -v29
	v_fmac_f32_e32 v25, v28, v24
	s_delay_alu instid0(VALU_DEP_1) | instskip(NEXT) | instid1(VALU_DEP_1)
	v_add_f32_e32 v30, v29, v25
	v_sub_f32_e32 v31, v27, v30
	s_delay_alu instid0(VALU_DEP_1) | instskip(SKIP_2) | instid1(VALU_DEP_3)
	v_sub_f32_e32 v27, v27, v31
	v_add_f32_e32 v18, v18, v23
	v_sub_f32_e32 v23, v30, v29
	v_sub_f32_e32 v27, v27, v30
	s_delay_alu instid0(VALU_DEP_1) | instskip(NEXT) | instid1(VALU_DEP_1)
	v_dual_sub_f32 v23, v23, v25 :: v_dual_add_f32 v18, v18, v27
	v_add_f32_e32 v18, v23, v18
	s_delay_alu instid0(VALU_DEP_1) | instskip(NEXT) | instid1(VALU_DEP_1)
	v_add_f32_e32 v23, v31, v18
	v_mul_f32_e32 v25, v22, v23
	s_delay_alu instid0(VALU_DEP_1) | instskip(NEXT) | instid1(VALU_DEP_1)
	v_dual_sub_f32 v30, v31, v23 :: v_dual_mul_f32 v27, v26, v25
	v_add_f32_e32 v18, v18, v30
	s_delay_alu instid0(VALU_DEP_2) | instskip(NEXT) | instid1(VALU_DEP_1)
	v_fma_f32 v26, v25, v26, -v27
	v_fmac_f32_e32 v26, v25, v24
	s_delay_alu instid0(VALU_DEP_1) | instskip(NEXT) | instid1(VALU_DEP_1)
	v_add_f32_e32 v24, v27, v26
	v_sub_f32_e32 v29, v23, v24
	s_delay_alu instid0(VALU_DEP_1) | instskip(NEXT) | instid1(VALU_DEP_1)
	v_sub_f32_e32 v23, v23, v29
	v_sub_f32_e32 v23, v23, v24
	s_delay_alu instid0(VALU_DEP_1) | instskip(SKIP_1) | instid1(VALU_DEP_1)
	v_dual_add_f32 v18, v18, v23 :: v_dual_add_f32 v23, v28, v25
	v_sub_f32_e32 v27, v24, v27
	v_sub_f32_e32 v24, v27, v26
	s_delay_alu instid0(VALU_DEP_1) | instskip(NEXT) | instid1(VALU_DEP_4)
	v_add_f32_e32 v18, v24, v18
	v_sub_f32_e32 v24, v23, v28
	s_delay_alu instid0(VALU_DEP_2) | instskip(NEXT) | instid1(VALU_DEP_2)
	v_add_f32_e32 v18, v29, v18
	v_sub_f32_e32 v24, v25, v24
	s_delay_alu instid0(VALU_DEP_2) | instskip(NEXT) | instid1(VALU_DEP_1)
	v_mul_f32_e32 v18, v22, v18
	v_add_f32_e32 v18, v24, v18
	s_delay_alu instid0(VALU_DEP_1) | instskip(NEXT) | instid1(VALU_DEP_1)
	v_add_f32_e32 v22, v23, v18
	v_mul_f32_e32 v24, v22, v22
	s_delay_alu instid0(VALU_DEP_1) | instskip(SKIP_2) | instid1(VALU_DEP_3)
	v_fmaak_f32 v25, s0, v24, 0x3ecc95a3
	v_mul_f32_e32 v26, v22, v24
	v_cmp_eq_f32_e64 s0, 0x7f800000, v21
	v_fmaak_f32 v24, v24, v25, 0x3f2aaada
	v_ldexp_f32 v25, v22, 1
	v_sub_f32_e32 v22, v22, v23
	s_delay_alu instid0(VALU_DEP_4) | instskip(NEXT) | instid1(VALU_DEP_3)
	s_or_b32 s0, s1, s0
	v_mul_f32_e32 v24, v26, v24
	v_mul_f32_e32 v26, 0x3f317218, v17
	s_delay_alu instid0(VALU_DEP_2) | instskip(NEXT) | instid1(VALU_DEP_1)
	v_dual_sub_f32 v18, v18, v22 :: v_dual_add_f32 v23, v25, v24
	v_ldexp_f32 v18, v18, 1
	s_delay_alu instid0(VALU_DEP_2) | instskip(NEXT) | instid1(VALU_DEP_4)
	v_sub_f32_e32 v22, v23, v25
	v_fma_f32 v25, 0x3f317218, v17, -v26
	s_delay_alu instid0(VALU_DEP_1) | instskip(NEXT) | instid1(VALU_DEP_1)
	v_dual_sub_f32 v22, v24, v22 :: v_dual_fmamk_f32 v17, v17, 0xb102e308, v25
	v_add_f32_e32 v18, v18, v22
	s_delay_alu instid0(VALU_DEP_2) | instskip(NEXT) | instid1(VALU_DEP_2)
	v_add_f32_e32 v22, v26, v17
	v_add_f32_e32 v24, v23, v18
	s_delay_alu instid0(VALU_DEP_2) | instskip(NEXT) | instid1(VALU_DEP_2)
	v_sub_f32_e32 v26, v22, v26
	v_add_f32_e32 v25, v22, v24
	v_sub_f32_e32 v23, v24, v23
	s_delay_alu instid0(VALU_DEP_3) | instskip(NEXT) | instid1(VALU_DEP_2)
	v_sub_f32_e32 v17, v17, v26
	v_dual_sub_f32 v27, v25, v22 :: v_dual_sub_f32 v18, v18, v23
	s_delay_alu instid0(VALU_DEP_1) | instskip(NEXT) | instid1(VALU_DEP_2)
	v_sub_f32_e32 v28, v25, v27
	v_dual_sub_f32 v23, v24, v27 :: v_dual_add_f32 v24, v17, v18
	s_delay_alu instid0(VALU_DEP_2) | instskip(NEXT) | instid1(VALU_DEP_1)
	v_sub_f32_e32 v22, v22, v28
	v_dual_add_f32 v22, v23, v22 :: v_dual_sub_f32 v23, v24, v17
	s_delay_alu instid0(VALU_DEP_1) | instskip(NEXT) | instid1(VALU_DEP_2)
	v_add_f32_e32 v22, v24, v22
	v_sub_f32_e32 v24, v24, v23
	v_sub_f32_e32 v18, v18, v23
	s_delay_alu instid0(VALU_DEP_3) | instskip(NEXT) | instid1(VALU_DEP_3)
	v_add_f32_e32 v26, v25, v22
	v_sub_f32_e32 v17, v17, v24
	s_delay_alu instid0(VALU_DEP_2) | instskip(NEXT) | instid1(VALU_DEP_2)
	v_sub_f32_e32 v23, v26, v25
	v_add_f32_e32 v17, v18, v17
	s_delay_alu instid0(VALU_DEP_2) | instskip(NEXT) | instid1(VALU_DEP_1)
	v_sub_f32_e32 v18, v22, v23
	v_add_f32_e32 v17, v17, v18
	s_delay_alu instid0(VALU_DEP_1) | instskip(NEXT) | instid1(VALU_DEP_1)
	v_add_f32_e32 v17, v26, v17
	v_cndmask_b32_e64 v70, v17, v21, s0
.LBB6_12:
	s_or_b32 exec_lo, exec_lo, s4
	v_add_co_u32 v53, s0, v19, s6
	s_delay_alu instid0(VALU_DEP_1) | instskip(NEXT) | instid1(VALU_DEP_3)
	v_add_co_ci_u32_e64 v54, s0, s7, v20, s0
	v_dual_mov_b32 v21, 0 :: v_dual_mul_f32 v74, v70, v15
	v_mul_f32_e32 v71, v70, v13
	global_load_b32 v72, v[53:54], off
	ds_load_b128 v[88:91], v21
	ds_load_b128 v[37:40], v21 offset:16
	ds_load_b128 v[25:28], v21 offset:32
	;; [unrolled: 1-line block ×3, first 2 shown]
	v_mul_f32_e32 v98, 0x3fb8aa3b, v74
	v_dual_mul_f32 v73, v70, v14 :: v_dual_mul_f32 v96, 0x3fb8aa3b, v71
	v_mul_f32_e32 v78, v70, v11
	ds_load_b128 v[92:95], v21 offset:64
	ds_load_b128 v[33:36], v21 offset:80
	v_fma_f32 v116, 0x3fb8aa3b, v74, -v98
	v_mul_f32_e32 v97, 0x3fb8aa3b, v73
	v_dual_mul_f32 v75, v70, v16 :: v_dual_mul_f32 v102, 0x3fb8aa3b, v78
	v_mul_f32_e32 v76, v70, v9
	v_fma_f32 v112, 0x3fb8aa3b, v71, -v96
	v_mul_f32_e32 v87, v70, v4
	s_delay_alu instid0(VALU_DEP_4) | instskip(NEXT) | instid1(VALU_DEP_4)
	v_mul_f32_e32 v99, 0x3fb8aa3b, v75
	v_dual_mul_f32 v77, v70, v10 :: v_dual_mul_f32 v100, 0x3fb8aa3b, v76
	v_mul_f32_e32 v82, v70, v7
	v_rndne_f32_e32 v113, v96
	v_fma_f32 v114, 0x3fb8aa3b, v73, -v97
	s_delay_alu instid0(VALU_DEP_4) | instskip(NEXT) | instid1(VALU_DEP_4)
	v_mul_f32_e32 v101, 0x3fb8aa3b, v77
	v_dual_mul_f32 v79, v70, v12 :: v_dual_mul_f32 v106, 0x3fb8aa3b, v82
	v_mul_f32_e32 v80, v70, v5
	v_rndne_f32_e32 v115, v97
	v_fmac_f32_e32 v112, 0x32a5705f, v71
	s_delay_alu instid0(VALU_DEP_4) | instskip(NEXT) | instid1(VALU_DEP_4)
	v_mul_f32_e32 v103, 0x3fb8aa3b, v79
	v_dual_mul_f32 v81, v70, v6 :: v_dual_mul_f32 v104, 0x3fb8aa3b, v80
	v_mul_f32_e32 v86, v70, v3
	v_dual_mul_f32 v111, 0x3fb8aa3b, v87 :: v_dual_sub_f32 v96, v96, v113
	s_delay_alu instid0(VALU_DEP_3) | instskip(NEXT) | instid1(VALU_DEP_3)
	v_mul_f32_e32 v105, 0x3fb8aa3b, v81
	v_dual_mul_f32 v83, v70, v8 :: v_dual_mul_f32 v110, 0x3fb8aa3b, v86
	v_mul_f32_e32 v84, v70, v1
	v_rndne_f32_e32 v117, v98
	v_fma_f32 v118, 0x3fb8aa3b, v75, -v99
	s_delay_alu instid0(VALU_DEP_4) | instskip(NEXT) | instid1(VALU_DEP_4)
	v_mul_f32_e32 v107, 0x3fb8aa3b, v83
	v_dual_mul_f32 v85, v70, v2 :: v_dual_mul_f32 v108, 0x3fb8aa3b, v84
	v_dual_fmac_f32 v114, 0x32a5705f, v73 :: v_dual_sub_f32 v97, v97, v115
	s_delay_alu instid0(VALU_DEP_2)
	v_dual_add_f32 v96, v96, v112 :: v_dual_mul_f32 v109, 0x3fb8aa3b, v85
	v_rndne_f32_e32 v119, v99
	v_rndne_f32_e32 v123, v101
	v_fmac_f32_e32 v116, 0x32a5705f, v74
	v_sub_f32_e32 v98, v98, v117
	v_dual_fmac_f32 v118, 0x32a5705f, v75 :: v_dual_add_f32 v97, v97, v114
	v_exp_f32_e32 v96, v96
	v_fma_f32 v120, 0x3fb8aa3b, v76, -v100
	v_rndne_f32_e32 v121, v100
	v_fma_f32 v122, 0x3fb8aa3b, v77, -v101
	v_fma_f32 v126, 0x3fb8aa3b, v79, -v103
	v_cvt_i32_f32_e32 v113, v113
	v_sub_f32_e32 v99, v99, v119
	v_dual_sub_f32 v101, v101, v123 :: v_dual_add_f32 v98, v98, v116
	v_exp_f32_e32 v97, v97
	v_rndne_f32_e32 v127, v103
	v_rndne_f32_e32 v131, v105
	v_cvt_i32_f32_e32 v115, v115
	v_fmac_f32_e32 v120, 0x32a5705f, v76
	v_sub_f32_e32 v100, v100, v121
	v_dual_fmac_f32 v126, 0x32a5705f, v79 :: v_dual_add_f32 v99, v99, v118
	v_exp_f32_e32 v98, v98
	v_ldexp_f32 v96, v96, v113
	v_cmp_ngt_f32_e64 s0, 0xc2ce8ed0, v71
	v_fma_f32 v124, 0x3fb8aa3b, v78, -v102
	v_rndne_f32_e32 v125, v102
	v_fma_f32 v128, 0x3fb8aa3b, v80, -v104
	v_fma_f32 v130, 0x3fb8aa3b, v81, -v105
	v_rndne_f32_e32 v135, v107
	v_cvt_i32_f32_e32 v117, v117
	v_dual_fmac_f32 v122, 0x32a5705f, v77 :: v_dual_sub_f32 v103, v103, v127
	v_dual_sub_f32 v105, v105, v131 :: v_dual_add_f32 v100, v100, v120
	v_exp_f32_e32 v99, v99
	v_ldexp_f32 v97, v97, v115
	v_cndmask_b32_e64 v96, 0, v96, s0
	v_cmp_ngt_f32_e64 s0, 0xc2ce8ed0, v73
	v_fma_f32 v134, 0x3fb8aa3b, v83, -v107
	v_rndne_f32_e32 v139, v109
	v_rndne_f32_e32 v143, v111
	v_cvt_i32_f32_e32 v119, v119
	v_fmac_f32_e32 v124, 0x32a5705f, v78
	v_dual_sub_f32 v102, v102, v125 :: v_dual_sub_f32 v107, v107, v135
	v_dual_fmac_f32 v128, 0x32a5705f, v80 :: v_dual_add_f32 v101, v101, v122
	v_exp_f32_e32 v100, v100
	v_ldexp_f32 v98, v98, v117
	v_cndmask_b32_e64 v97, 0, v97, s0
	v_cmp_ngt_f32_e64 s0, 0xc2ce8ed0, v74
	v_rndne_f32_e32 v129, v104
	v_fma_f32 v138, 0x3fb8aa3b, v85, -v109
	v_fma_f32 v142, 0x3fb8aa3b, v87, -v111
	v_cvt_i32_f32_e32 v121, v121
	v_sub_f32_e32 v109, v109, v139
	v_dual_sub_f32 v111, v111, v143 :: v_dual_add_f32 v102, v102, v124
	v_exp_f32_e32 v101, v101
	v_ldexp_f32 v99, v99, v119
	v_cndmask_b32_e64 v98, 0, v98, s0
	v_cmp_ngt_f32_e64 s0, 0xc2ce8ed0, v75
	v_cvt_i32_f32_e32 v123, v123
	v_dual_sub_f32 v104, v104, v129 :: v_dual_add_f32 v103, v103, v126
	v_exp_f32_e32 v102, v102
	v_ldexp_f32 v100, v100, v121
	v_cndmask_b32_e64 v99, 0, v99, s0
	v_cmp_ngt_f32_e64 s0, 0xc2ce8ed0, v76
	v_fma_f32 v132, 0x3fb8aa3b, v82, -v106
	v_rndne_f32_e32 v133, v106
	v_cvt_i32_f32_e32 v125, v125
	v_add_f32_e32 v104, v104, v128
	v_exp_f32_e32 v103, v103
	v_ldexp_f32 v101, v101, v123
	v_cndmask_b32_e64 v100, 0, v100, s0
	v_cmp_ngt_f32_e64 s0, 0xc2ce8ed0, v77
	v_cvt_i32_f32_e32 v127, v127
	v_exp_f32_e32 v104, v104
	v_ldexp_f32 v102, v102, v125
	v_fma_f32 v136, 0x3fb8aa3b, v84, -v108
	v_cndmask_b32_e64 v101, 0, v101, s0
	v_cmp_ngt_f32_e64 s0, 0xc2ce8ed0, v78
	v_rndne_f32_e32 v137, v108
	v_cvt_i32_f32_e32 v129, v129
	v_ldexp_f32 v103, v103, v127
	v_cvt_i32_f32_e32 v131, v131
	v_cndmask_b32_e64 v102, 0, v102, s0
	v_cmp_ngt_f32_e64 s0, 0xc2ce8ed0, v79
	v_sub_f32_e32 v108, v108, v137
	v_ldexp_f32 v104, v104, v129
	v_fma_f32 v140, 0x3fb8aa3b, v86, -v110
	v_rndne_f32_e32 v141, v110
	v_cndmask_b32_e64 v103, 0, v103, s0
	v_cmp_ngt_f32_e64 s0, 0xc2ce8ed0, v80
	v_cvt_i32_f32_e32 v135, v135
	v_fmac_f32_e32 v140, 0x32a5705f, v86
	v_sub_f32_e32 v110, v110, v141
	v_cvt_i32_f32_e32 v137, v137
	v_cndmask_b32_e64 v104, 0, v104, s0
	v_cmp_ngt_f32_e64 s0, 0xc2ce8ed0, v81
	v_cvt_i32_f32_e32 v139, v139
	v_cvt_i32_f32_e32 v141, v141
	;; [unrolled: 1-line block ×3, first 2 shown]
	ds_load_b128 v[29:32], v21 offset:96
	ds_load_b128 v[21:24], v21 offset:112
	s_waitcnt vmcnt(0)
	v_mul_f32_e32 v112, v70, v72
	v_fmac_f32_e32 v138, 0x32a5705f, v85
	v_fmac_f32_e32 v134, 0x32a5705f, v83
	;; [unrolled: 1-line block ×4, first 2 shown]
	s_delay_alu instid0(VALU_DEP_4) | instskip(NEXT) | instid1(VALU_DEP_4)
	v_dual_fmac_f32 v136, 0x32a5705f, v84 :: v_dual_add_f32 v109, v109, v138
	v_dual_fmac_f32 v130, 0x32a5705f, v81 :: v_dual_add_f32 v107, v107, v134
	v_sub_f32_e32 v106, v106, v133
	v_cvt_i32_f32_e32 v133, v133
	v_add_f32_e32 v111, v111, v142
	s_delay_alu instid0(VALU_DEP_4) | instskip(NEXT) | instid1(VALU_DEP_4)
	v_dual_add_f32 v105, v105, v130 :: v_dual_add_f32 v108, v108, v136
	v_add_f32_e32 v106, v106, v132
	v_exp_f32_e32 v107, v107
	v_add_f32_e32 v110, v110, v140
	s_delay_alu instid0(VALU_DEP_3)
	v_exp_f32_e32 v105, v105
	v_exp_f32_e32 v108, v108
	;; [unrolled: 1-line block ×6, first 2 shown]
	s_waitcnt lgkmcnt(7)
	v_mul_f32_e32 v70, v112, v88
	v_ldexp_f32 v107, v107, v135
	v_ldexp_f32 v105, v105, v131
	;; [unrolled: 1-line block ×4, first 2 shown]
	s_delay_alu instid0(TRANS32_DEP_3) | instskip(NEXT) | instid1(TRANS32_DEP_2)
	v_ldexp_f32 v109, v109, v139
	v_ldexp_f32 v110, v110, v141
	v_cndmask_b32_e64 v105, 0, v105, s0
	v_cmp_ngt_f32_e64 s0, 0xc2ce8ed0, v82
	v_ldexp_f32 v111, v111, v143
	s_delay_alu instid0(VALU_DEP_2) | instskip(SKIP_1) | instid1(VALU_DEP_1)
	v_cndmask_b32_e64 v106, 0, v106, s0
	v_cmp_ngt_f32_e64 s0, 0xc2ce8ed0, v83
	v_cndmask_b32_e64 v107, 0, v107, s0
	v_cmp_ngt_f32_e64 s0, 0xc2ce8ed0, v84
	s_delay_alu instid0(VALU_DEP_1) | instskip(SKIP_1) | instid1(VALU_DEP_1)
	v_cndmask_b32_e64 v108, 0, v108, s0
	v_cmp_ngt_f32_e64 s0, 0xc2ce8ed0, v85
	v_cndmask_b32_e64 v109, 0, v109, s0
	v_cmp_ngt_f32_e64 s0, 0xc2ce8ed0, v86
	s_delay_alu instid0(VALU_DEP_1) | instskip(SKIP_1) | instid1(VALU_DEP_1)
	v_cndmask_b32_e64 v110, 0, v110, s0
	v_cmp_nlt_f32_e64 s0, 0x42b17218, v71
	v_cndmask_b32_e64 v71, 0x7f800000, v96, s0
	v_cmp_ngt_f32_e64 s0, 0xc2ce8ed0, v87
	s_delay_alu instid0(VALU_DEP_2) | instskip(NEXT) | instid1(VALU_DEP_2)
	v_fmac_f32_e32 v70, v52, v71
	v_cndmask_b32_e64 v88, 0, v111, s0
	v_cmp_nlt_f32_e64 s0, 0x42b17218, v73
	v_mul_f32_e32 v71, v112, v90
	s_delay_alu instid0(VALU_DEP_2) | instskip(SKIP_1) | instid1(VALU_DEP_1)
	v_cndmask_b32_e64 v73, 0x7f800000, v97, s0
	v_cmp_nlt_f32_e64 s0, 0x42b17218, v74
	v_cndmask_b32_e64 v52, 0x7f800000, v98, s0
	v_cmp_nlt_f32_e64 s0, 0x42b17218, v75
	s_delay_alu instid0(VALU_DEP_2) | instskip(NEXT) | instid1(VALU_DEP_2)
	v_fmac_f32_e32 v71, v56, v52
	v_cndmask_b32_e64 v74, 0x7f800000, v99, s0
	v_cmp_nlt_f32_e64 s0, 0x42b17218, v76
	s_waitcnt lgkmcnt(6)
	v_mul_f32_e32 v56, v112, v37
	s_delay_alu instid0(VALU_DEP_2) | instskip(SKIP_1) | instid1(VALU_DEP_2)
	v_cndmask_b32_e64 v52, 0x7f800000, v100, s0
	v_cmp_nlt_f32_e64 s0, 0x42b17218, v77
	v_fmac_f32_e32 v56, v58, v52
	v_mul_f32_e32 v72, v112, v89
	s_delay_alu instid0(VALU_DEP_3) | instskip(SKIP_2) | instid1(VALU_DEP_4)
	v_cndmask_b32_e64 v37, 0x7f800000, v101, s0
	v_cmp_nlt_f32_e64 s0, 0x42b17218, v78
	v_mul_f32_e32 v58, v112, v39
	v_dual_fmac_f32 v72, v69, v73 :: v_dual_mul_f32 v69, v112, v91
	s_waitcnt lgkmcnt(3)
	v_fma_f32 v73, v92, v70, 0
	s_delay_alu instid0(VALU_DEP_2) | instskip(SKIP_3) | instid1(VALU_DEP_3)
	v_fmac_f32_e32 v69, v57, v74
	v_mul_f32_e32 v57, v112, v38
	v_cndmask_b32_e64 v38, 0x7f800000, v102, s0
	v_cmp_nlt_f32_e64 s0, 0x42b17218, v79
	v_fmac_f32_e32 v57, v59, v37
	v_mul_f32_e32 v59, v112, v40
	s_delay_alu instid0(VALU_DEP_4) | instskip(NEXT) | instid1(VALU_DEP_1)
	v_dual_fmac_f32 v73, v93, v72 :: v_dual_fmac_f32 v58, v60, v38
	v_fmac_f32_e32 v73, v94, v71
	s_delay_alu instid0(VALU_DEP_1) | instskip(SKIP_1) | instid1(VALU_DEP_1)
	v_fmac_f32_e32 v73, v95, v69
	s_waitcnt lgkmcnt(2)
	v_fmac_f32_e32 v73, v33, v56
	v_cndmask_b32_e64 v33, 0x7f800000, v103, s0
	v_cmp_nlt_f32_e64 s0, 0x42b17218, v80
	s_delay_alu instid0(VALU_DEP_3) | instskip(NEXT) | instid1(VALU_DEP_3)
	v_fmac_f32_e32 v73, v34, v57
	v_fmac_f32_e32 v59, v61, v33
	s_delay_alu instid0(VALU_DEP_3) | instskip(SKIP_1) | instid1(VALU_DEP_4)
	v_cndmask_b32_e64 v34, 0x7f800000, v104, s0
	v_cmp_nlt_f32_e64 s0, 0x42b17218, v81
	v_fmac_f32_e32 v73, v35, v58
	s_delay_alu instid0(VALU_DEP_1) | instskip(SKIP_1) | instid1(VALU_DEP_4)
	v_fmac_f32_e32 v73, v36, v59
	v_mul_f32_e32 v60, v112, v25
	v_cndmask_b32_e64 v25, 0x7f800000, v105, s0
	v_cmp_nlt_f32_e64 s0, 0x42b17218, v82
	v_mul_f32_e32 v61, v112, v26
	s_delay_alu instid0(VALU_DEP_4) | instskip(SKIP_1) | instid1(VALU_DEP_4)
	v_fmac_f32_e32 v60, v62, v34
	v_mul_f32_e32 v62, v112, v27
	v_cndmask_b32_e64 v26, 0x7f800000, v106, s0
	v_cmp_nlt_f32_e64 s0, 0x42b17218, v83
	v_fmac_f32_e32 v61, v63, v25
	v_mul_f32_e32 v63, v112, v28
	s_waitcnt lgkmcnt(1)
	v_dual_fmac_f32 v73, v29, v60 :: v_dual_fmac_f32 v62, v64, v26
	v_cndmask_b32_e64 v25, 0x7f800000, v107, s0
	v_cmp_nlt_f32_e64 s0, 0x42b17218, v84
	v_mul_f32_e32 v64, v112, v17
	s_delay_alu instid0(VALU_DEP_4) | instskip(NEXT) | instid1(VALU_DEP_4)
	v_fmac_f32_e32 v73, v30, v61
	v_fmac_f32_e32 v63, v65, v25
	s_delay_alu instid0(VALU_DEP_4) | instskip(SKIP_2) | instid1(VALU_DEP_2)
	v_cndmask_b32_e64 v26, 0x7f800000, v108, s0
	v_cmp_nlt_f32_e64 s0, 0x42b17218, v85
	v_mul_f32_e32 v65, v112, v18
	v_cndmask_b32_e64 v17, 0x7f800000, v109, s0
	v_cmp_nlt_f32_e64 s0, 0x42b17218, v86
	s_delay_alu instid0(VALU_DEP_2) | instskip(NEXT) | instid1(VALU_DEP_2)
	v_fmac_f32_e32 v65, v67, v17
	v_cndmask_b32_e64 v18, 0x7f800000, v110, s0
	v_cmp_nlt_f32_e64 s0, 0x42b17218, v87
	v_mul_f32_e32 v67, v112, v20
	s_delay_alu instid0(VALU_DEP_2) | instskip(SKIP_1) | instid1(VALU_DEP_1)
	v_cndmask_b32_e64 v17, 0x7f800000, v88, s0
	s_ashr_i64 s[0:1], s[12:13], 29
	v_fmac_f32_e32 v67, v51, v17
	v_fmac_f32_e32 v73, v31, v62
	;; [unrolled: 1-line block ×3, first 2 shown]
	v_mul_f32_e32 v66, v112, v19
	v_add_co_u32 v17, s0, v47, s0
	s_delay_alu instid0(VALU_DEP_4) | instskip(NEXT) | instid1(VALU_DEP_3)
	v_fmac_f32_e32 v73, v32, v63
	v_fmac_f32_e32 v66, v68, v18
	v_add_co_ci_u32_e64 v18, s0, s1, v48, s0
	s_waitcnt lgkmcnt(0)
	s_delay_alu instid0(VALU_DEP_3) | instskip(NEXT) | instid1(VALU_DEP_1)
	v_fmac_f32_e32 v73, v21, v64
	v_fmac_f32_e32 v73, v22, v65
	s_delay_alu instid0(VALU_DEP_1) | instskip(NEXT) | instid1(VALU_DEP_1)
	v_fmac_f32_e32 v73, v23, v66
	v_fmac_f32_e32 v73, v24, v67
	global_store_b32 v[17:18], v73, off
	s_waitcnt_vscnt null, 0x0
	s_barrier
	buffer_gl0_inv
	s_and_saveexec_b32 s0, vcc_lo
	s_cbranch_execz .LBB6_14
; %bb.13:
	v_mad_i64_i32 v[17:18], null, s2, 12, v[45:46]
	v_mad_i64_i32 v[19:20], null, s10, 12, v[43:44]
	global_load_b32 v17, v[17:18], off
	global_load_b32 v18, v[19:20], off
	s_waitcnt vmcnt(1)
	ds_store_b32 v55, v17
	s_waitcnt vmcnt(0)
	ds_store_b32 v0, v18
.LBB6_14:
	s_or_b32 exec_lo, exec_lo, s0
	v_add_co_u32 v51, s0, v49, s8
	s_delay_alu instid0(VALU_DEP_1)
	v_add_co_ci_u32_e64 v52, s0, s9, v50, s0
	s_waitcnt lgkmcnt(0)
	s_barrier
	buffer_gl0_inv
	global_load_b32 v68, v[51:52], off
	s_mov_b32 s4, exec_lo
	s_waitcnt vmcnt(0)
	v_cmpx_ge_f32_e32 0x41a00000, v68
	s_cbranch_execz .LBB6_16
; %bb.15:
	v_mul_f32_e32 v17, 0x3fb8aa3b, v68
	v_cmp_ngt_f32_e64 s0, 0xc2ce8ed0, v68
	s_delay_alu instid0(VALU_DEP_2) | instskip(SKIP_1) | instid1(VALU_DEP_2)
	v_rndne_f32_e32 v18, v17
	v_fma_f32 v19, 0x3fb8aa3b, v68, -v17
	v_sub_f32_e32 v17, v17, v18
	s_delay_alu instid0(VALU_DEP_2) | instskip(SKIP_1) | instid1(VALU_DEP_2)
	v_fmamk_f32 v19, v68, 0x32a5705f, v19
	v_cvt_i32_f32_e32 v18, v18
	v_add_f32_e32 v17, v17, v19
	s_delay_alu instid0(VALU_DEP_1) | instskip(SKIP_2) | instid1(VALU_DEP_1)
	v_exp_f32_e32 v17, v17
	s_waitcnt_depctr 0xfff
	v_ldexp_f32 v17, v17, v18
	v_cndmask_b32_e64 v17, 0, v17, s0
	v_cmp_nlt_f32_e64 s0, 0x42b17218, v68
	s_delay_alu instid0(VALU_DEP_1) | instskip(NEXT) | instid1(VALU_DEP_1)
	v_cndmask_b32_e64 v19, 0x7f800000, v17, s0
	v_add_f32_e32 v20, 1.0, v19
	v_cmp_gt_f32_e64 s1, 0x33800000, v19
	s_delay_alu instid0(VALU_DEP_2) | instskip(NEXT) | instid1(VALU_DEP_1)
	v_cvt_f64_f32_e32 v[17:18], v20
	v_frexp_exp_i32_f64_e32 v17, v[17:18]
	v_frexp_mant_f32_e32 v18, v20
	s_delay_alu instid0(VALU_DEP_1) | instskip(SKIP_1) | instid1(VALU_DEP_1)
	v_cmp_gt_f32_e64 s0, 0x3f2aaaab, v18
	v_add_f32_e32 v18, -1.0, v20
	v_sub_f32_e32 v22, v18, v20
	v_sub_f32_e32 v18, v19, v18
	s_delay_alu instid0(VALU_DEP_4) | instskip(SKIP_1) | instid1(VALU_DEP_1)
	v_subrev_co_ci_u32_e64 v17, s0, 0, v17, s0
	s_mov_b32 s0, 0x3e9b6dac
	v_sub_nc_u32_e32 v21, 0, v17
	v_cvt_f32_i32_e32 v17, v17
	s_delay_alu instid0(VALU_DEP_2) | instskip(NEXT) | instid1(VALU_DEP_1)
	v_ldexp_f32 v20, v20, v21
	v_dual_add_f32 v22, 1.0, v22 :: v_dual_add_f32 v23, 1.0, v20
	s_delay_alu instid0(VALU_DEP_1) | instskip(NEXT) | instid1(VALU_DEP_1)
	v_add_f32_e32 v18, v18, v22
	v_ldexp_f32 v18, v18, v21
	s_delay_alu instid0(VALU_DEP_3) | instskip(NEXT) | instid1(VALU_DEP_1)
	v_dual_add_f32 v21, -1.0, v20 :: v_dual_add_f32 v22, -1.0, v23
	v_add_f32_e32 v24, 1.0, v21
	s_delay_alu instid0(VALU_DEP_2) | instskip(NEXT) | instid1(VALU_DEP_2)
	v_sub_f32_e32 v22, v20, v22
	v_sub_f32_e32 v20, v20, v24
	s_delay_alu instid0(VALU_DEP_2) | instskip(NEXT) | instid1(VALU_DEP_2)
	v_add_f32_e32 v22, v18, v22
	v_add_f32_e32 v18, v18, v20
	s_delay_alu instid0(VALU_DEP_1) | instskip(NEXT) | instid1(VALU_DEP_1)
	v_add_f32_e32 v25, v21, v18
	v_dual_add_f32 v24, v23, v22 :: v_dual_sub_f32 v21, v21, v25
	s_delay_alu instid0(VALU_DEP_1) | instskip(SKIP_1) | instid1(VALU_DEP_1)
	v_rcp_f32_e32 v20, v24
	v_sub_f32_e32 v23, v23, v24
	v_add_f32_e32 v22, v22, v23
	s_waitcnt_depctr 0xfff
	v_mul_f32_e32 v26, v25, v20
	s_delay_alu instid0(VALU_DEP_1) | instskip(NEXT) | instid1(VALU_DEP_1)
	v_mul_f32_e32 v27, v24, v26
	v_fma_f32 v23, v26, v24, -v27
	s_delay_alu instid0(VALU_DEP_1) | instskip(SKIP_1) | instid1(VALU_DEP_2)
	v_fmac_f32_e32 v23, v26, v22
	v_add_f32_e32 v18, v18, v21
	v_add_f32_e32 v28, v27, v23
	s_delay_alu instid0(VALU_DEP_1) | instskip(SKIP_1) | instid1(VALU_DEP_2)
	v_sub_f32_e32 v29, v25, v28
	v_sub_f32_e32 v21, v28, v27
	;; [unrolled: 1-line block ×3, first 2 shown]
	s_delay_alu instid0(VALU_DEP_2) | instskip(NEXT) | instid1(VALU_DEP_2)
	v_sub_f32_e32 v21, v21, v23
	v_sub_f32_e32 v25, v25, v28
	s_delay_alu instid0(VALU_DEP_1) | instskip(NEXT) | instid1(VALU_DEP_1)
	v_add_f32_e32 v18, v18, v25
	v_add_f32_e32 v18, v21, v18
	s_delay_alu instid0(VALU_DEP_1) | instskip(NEXT) | instid1(VALU_DEP_1)
	v_add_f32_e32 v21, v29, v18
	v_mul_f32_e32 v23, v20, v21
	s_delay_alu instid0(VALU_DEP_1) | instskip(NEXT) | instid1(VALU_DEP_1)
	v_dual_sub_f32 v28, v29, v21 :: v_dual_mul_f32 v25, v24, v23
	v_add_f32_e32 v18, v18, v28
	s_delay_alu instid0(VALU_DEP_2) | instskip(NEXT) | instid1(VALU_DEP_1)
	v_fma_f32 v24, v23, v24, -v25
	v_fmac_f32_e32 v24, v23, v22
	s_delay_alu instid0(VALU_DEP_1) | instskip(NEXT) | instid1(VALU_DEP_1)
	v_add_f32_e32 v22, v25, v24
	v_sub_f32_e32 v27, v21, v22
	s_delay_alu instid0(VALU_DEP_1) | instskip(NEXT) | instid1(VALU_DEP_1)
	v_sub_f32_e32 v21, v21, v27
	v_sub_f32_e32 v21, v21, v22
	s_delay_alu instid0(VALU_DEP_1) | instskip(SKIP_2) | instid1(VALU_DEP_1)
	v_add_f32_e32 v18, v18, v21
	v_add_f32_e32 v21, v26, v23
	v_sub_f32_e32 v25, v22, v25
	v_sub_f32_e32 v22, v25, v24
	s_delay_alu instid0(VALU_DEP_1) | instskip(NEXT) | instid1(VALU_DEP_4)
	v_add_f32_e32 v18, v22, v18
	v_sub_f32_e32 v22, v21, v26
	s_delay_alu instid0(VALU_DEP_2) | instskip(NEXT) | instid1(VALU_DEP_2)
	v_add_f32_e32 v18, v27, v18
	v_sub_f32_e32 v22, v23, v22
	s_delay_alu instid0(VALU_DEP_2) | instskip(NEXT) | instid1(VALU_DEP_1)
	v_mul_f32_e32 v18, v20, v18
	v_add_f32_e32 v18, v22, v18
	s_delay_alu instid0(VALU_DEP_1) | instskip(NEXT) | instid1(VALU_DEP_1)
	v_add_f32_e32 v20, v21, v18
	v_mul_f32_e32 v22, v20, v20
	s_delay_alu instid0(VALU_DEP_1) | instskip(SKIP_2) | instid1(VALU_DEP_3)
	v_fmaak_f32 v23, s0, v22, 0x3ecc95a3
	v_mul_f32_e32 v24, v20, v22
	v_cmp_eq_f32_e64 s0, 0x7f800000, v19
	v_fmaak_f32 v22, v22, v23, 0x3f2aaada
	v_ldexp_f32 v23, v20, 1
	v_sub_f32_e32 v20, v20, v21
	s_delay_alu instid0(VALU_DEP_4) | instskip(NEXT) | instid1(VALU_DEP_3)
	s_or_b32 s0, s1, s0
	v_mul_f32_e32 v22, v24, v22
	s_delay_alu instid0(VALU_DEP_1) | instskip(NEXT) | instid1(VALU_DEP_1)
	v_dual_sub_f32 v18, v18, v20 :: v_dual_add_f32 v21, v23, v22
	v_ldexp_f32 v18, v18, 1
	s_delay_alu instid0(VALU_DEP_2) | instskip(NEXT) | instid1(VALU_DEP_1)
	v_sub_f32_e32 v20, v21, v23
	v_sub_f32_e32 v20, v22, v20
	s_delay_alu instid0(VALU_DEP_1) | instskip(NEXT) | instid1(VALU_DEP_1)
	v_add_f32_e32 v18, v18, v20
	v_add_f32_e32 v22, v21, v18
	v_mul_f32_e32 v24, 0x3f317218, v17
	s_delay_alu instid0(VALU_DEP_2) | instskip(NEXT) | instid1(VALU_DEP_2)
	v_sub_f32_e32 v21, v22, v21
	v_fma_f32 v23, 0x3f317218, v17, -v24
	s_delay_alu instid0(VALU_DEP_1) | instskip(NEXT) | instid1(VALU_DEP_1)
	v_dual_sub_f32 v18, v18, v21 :: v_dual_fmamk_f32 v17, v17, 0xb102e308, v23
	v_add_f32_e32 v20, v24, v17
	s_delay_alu instid0(VALU_DEP_1) | instskip(SKIP_1) | instid1(VALU_DEP_2)
	v_add_f32_e32 v23, v20, v22
	v_sub_f32_e32 v24, v20, v24
	v_sub_f32_e32 v25, v23, v20
	s_delay_alu instid0(VALU_DEP_1) | instskip(NEXT) | instid1(VALU_DEP_1)
	v_dual_sub_f32 v17, v17, v24 :: v_dual_sub_f32 v26, v23, v25
	v_dual_sub_f32 v21, v22, v25 :: v_dual_add_f32 v22, v17, v18
	s_delay_alu instid0(VALU_DEP_2) | instskip(NEXT) | instid1(VALU_DEP_1)
	v_sub_f32_e32 v20, v20, v26
	v_dual_add_f32 v20, v21, v20 :: v_dual_sub_f32 v21, v22, v17
	s_delay_alu instid0(VALU_DEP_1) | instskip(NEXT) | instid1(VALU_DEP_2)
	v_add_f32_e32 v20, v22, v20
	v_sub_f32_e32 v22, v22, v21
	v_sub_f32_e32 v18, v18, v21
	s_delay_alu instid0(VALU_DEP_2) | instskip(NEXT) | instid1(VALU_DEP_1)
	v_dual_add_f32 v24, v23, v20 :: v_dual_sub_f32 v17, v17, v22
	v_sub_f32_e32 v21, v24, v23
	s_delay_alu instid0(VALU_DEP_2) | instskip(NEXT) | instid1(VALU_DEP_2)
	v_add_f32_e32 v17, v18, v17
	v_sub_f32_e32 v18, v20, v21
	s_delay_alu instid0(VALU_DEP_1) | instskip(NEXT) | instid1(VALU_DEP_1)
	v_add_f32_e32 v17, v17, v18
	v_add_f32_e32 v17, v24, v17
	s_delay_alu instid0(VALU_DEP_1)
	v_cndmask_b32_e64 v68, v17, v19, s0
.LBB6_16:
	s_or_b32 exec_lo, exec_lo, s4
	v_add_co_u32 v49, s0, v53, s6
	s_delay_alu instid0(VALU_DEP_1) | instskip(NEXT) | instid1(VALU_DEP_3)
	v_add_co_ci_u32_e64 v50, s0, s7, v54, s0
	v_dual_mov_b32 v21, 0 :: v_dual_mul_f32 v74, v68, v15
	v_mul_f32_e32 v53, v68, v13
	global_load_b32 v54, v[49:50], off
	ds_load_b128 v[88:91], v21
	ds_load_b128 v[37:40], v21 offset:16
	ds_load_b128 v[25:28], v21 offset:32
	;; [unrolled: 1-line block ×3, first 2 shown]
	v_mul_f32_e32 v98, 0x3fb8aa3b, v74
	v_dual_mul_f32 v73, v68, v14 :: v_dual_mul_f32 v96, 0x3fb8aa3b, v53
	v_mul_f32_e32 v78, v68, v11
	v_cmp_ngt_f32_e64 s0, 0xc2ce8ed0, v53
	s_delay_alu instid0(VALU_DEP_4) | instskip(NEXT) | instid1(VALU_DEP_4)
	v_fma_f32 v116, 0x3fb8aa3b, v74, -v98
	v_mul_f32_e32 v97, 0x3fb8aa3b, v73
	s_delay_alu instid0(VALU_DEP_4) | instskip(SKIP_3) | instid1(VALU_DEP_4)
	v_dual_mul_f32 v75, v68, v16 :: v_dual_mul_f32 v102, 0x3fb8aa3b, v78
	v_mul_f32_e32 v76, v68, v9
	v_fma_f32 v112, 0x3fb8aa3b, v53, -v96
	v_mul_f32_e32 v87, v68, v4
	v_mul_f32_e32 v99, 0x3fb8aa3b, v75
	s_delay_alu instid0(VALU_DEP_4) | instskip(SKIP_3) | instid1(VALU_DEP_4)
	v_dual_mul_f32 v77, v68, v10 :: v_dual_mul_f32 v100, 0x3fb8aa3b, v76
	v_mul_f32_e32 v82, v68, v7
	v_rndne_f32_e32 v113, v96
	v_fma_f32 v114, 0x3fb8aa3b, v73, -v97
	v_mul_f32_e32 v101, 0x3fb8aa3b, v77
	s_delay_alu instid0(VALU_DEP_4) | instskip(SKIP_3) | instid1(VALU_DEP_4)
	v_dual_mul_f32 v79, v68, v12 :: v_dual_mul_f32 v106, 0x3fb8aa3b, v82
	v_mul_f32_e32 v80, v68, v5
	v_rndne_f32_e32 v115, v97
	v_fmac_f32_e32 v112, 0x32a5705f, v53
	v_mul_f32_e32 v103, 0x3fb8aa3b, v79
	s_delay_alu instid0(VALU_DEP_4) | instskip(SKIP_2) | instid1(VALU_DEP_3)
	v_dual_mul_f32 v81, v68, v6 :: v_dual_mul_f32 v104, 0x3fb8aa3b, v80
	v_mul_f32_e32 v86, v68, v3
	v_dual_mul_f32 v111, 0x3fb8aa3b, v87 :: v_dual_sub_f32 v96, v96, v113
	v_mul_f32_e32 v105, 0x3fb8aa3b, v81
	s_delay_alu instid0(VALU_DEP_3) | instskip(SKIP_3) | instid1(VALU_DEP_4)
	v_dual_mul_f32 v83, v68, v8 :: v_dual_mul_f32 v110, 0x3fb8aa3b, v86
	v_mul_f32_e32 v84, v68, v1
	v_rndne_f32_e32 v117, v98
	v_fma_f32 v118, 0x3fb8aa3b, v75, -v99
	v_mul_f32_e32 v107, 0x3fb8aa3b, v83
	s_delay_alu instid0(VALU_DEP_4) | instskip(SKIP_1) | instid1(VALU_DEP_2)
	v_dual_mul_f32 v85, v68, v2 :: v_dual_mul_f32 v108, 0x3fb8aa3b, v84
	v_dual_fmac_f32 v114, 0x32a5705f, v73 :: v_dual_sub_f32 v97, v97, v115
	v_dual_add_f32 v96, v96, v112 :: v_dual_mul_f32 v109, 0x3fb8aa3b, v85
	v_rndne_f32_e32 v119, v99
	v_rndne_f32_e32 v123, v101
	v_fmac_f32_e32 v116, 0x32a5705f, v74
	v_sub_f32_e32 v98, v98, v117
	v_dual_fmac_f32 v118, 0x32a5705f, v75 :: v_dual_add_f32 v97, v97, v114
	v_exp_f32_e32 v96, v96
	v_fma_f32 v120, 0x3fb8aa3b, v76, -v100
	v_rndne_f32_e32 v121, v100
	v_fma_f32 v122, 0x3fb8aa3b, v77, -v101
	v_fma_f32 v126, 0x3fb8aa3b, v79, -v103
	v_cvt_i32_f32_e32 v113, v113
	v_sub_f32_e32 v99, v99, v119
	v_sub_f32_e32 v101, v101, v123
	v_exp_f32_e32 v97, v97
	v_rndne_f32_e32 v127, v103
	v_rndne_f32_e32 v131, v105
	v_cvt_i32_f32_e32 v115, v115
	v_fmac_f32_e32 v120, 0x32a5705f, v76
	v_sub_f32_e32 v100, v100, v121
	v_dual_fmac_f32 v126, 0x32a5705f, v79 :: v_dual_add_f32 v99, v99, v118
	v_ldexp_f32 v96, v96, v113
	v_fma_f32 v124, 0x3fb8aa3b, v78, -v102
	v_rndne_f32_e32 v125, v102
	v_fma_f32 v128, 0x3fb8aa3b, v80, -v104
	v_fma_f32 v130, 0x3fb8aa3b, v81, -v105
	v_rndne_f32_e32 v135, v107
	v_cvt_i32_f32_e32 v117, v117
	v_dual_fmac_f32 v122, 0x32a5705f, v77 :: v_dual_sub_f32 v103, v103, v127
	v_dual_sub_f32 v105, v105, v131 :: v_dual_add_f32 v100, v100, v120
	v_exp_f32_e32 v99, v99
	v_ldexp_f32 v97, v97, v115
	v_cndmask_b32_e64 v96, 0, v96, s0
	v_cmp_ngt_f32_e64 s0, 0xc2ce8ed0, v73
	v_fma_f32 v134, 0x3fb8aa3b, v83, -v107
	v_rndne_f32_e32 v139, v109
	v_rndne_f32_e32 v143, v111
	v_cvt_i32_f32_e32 v119, v119
	v_fmac_f32_e32 v124, 0x32a5705f, v78
	v_dual_sub_f32 v102, v102, v125 :: v_dual_sub_f32 v107, v107, v135
	v_dual_fmac_f32 v128, 0x32a5705f, v80 :: v_dual_add_f32 v101, v101, v122
	v_exp_f32_e32 v100, v100
	v_cndmask_b32_e64 v97, 0, v97, s0
	v_cmp_ngt_f32_e64 s0, 0xc2ce8ed0, v74
	v_rndne_f32_e32 v129, v104
	v_fma_f32 v138, 0x3fb8aa3b, v85, -v109
	v_fma_f32 v140, 0x3fb8aa3b, v86, -v110
	v_rndne_f32_e32 v141, v110
	v_fma_f32 v142, 0x3fb8aa3b, v87, -v111
	v_cvt_i32_f32_e32 v121, v121
	v_sub_f32_e32 v109, v109, v139
	v_sub_f32_e32 v111, v111, v143
	v_exp_f32_e32 v101, v101
	v_ldexp_f32 v99, v99, v119
	v_cvt_i32_f32_e32 v123, v123
	v_dual_sub_f32 v104, v104, v129 :: v_dual_add_f32 v103, v103, v126
	v_fmac_f32_e32 v138, 0x32a5705f, v85
	v_ldexp_f32 v100, v100, v121
	v_fma_f32 v132, 0x3fb8aa3b, v82, -v106
	v_rndne_f32_e32 v133, v106
	v_cvt_i32_f32_e32 v125, v125
	v_dual_fmac_f32 v134, 0x32a5705f, v83 :: v_dual_add_f32 v109, v109, v138
	v_fmac_f32_e32 v130, 0x32a5705f, v81
	v_exp_f32_e32 v103, v103
	v_ldexp_f32 v101, v101, v123
	s_delay_alu instid0(VALU_DEP_3)
	v_add_f32_e32 v107, v107, v134
	v_cvt_i32_f32_e32 v127, v127
	v_dual_sub_f32 v106, v106, v133 :: v_dual_add_f32 v105, v105, v130
	v_fma_f32 v136, 0x3fb8aa3b, v84, -v108
	v_rndne_f32_e32 v137, v108
	v_cvt_i32_f32_e32 v129, v129
	v_cvt_i32_f32_e32 v131, v131
	v_exp_f32_e32 v105, v105
	v_ldexp_f32 v103, v103, v127
	v_sub_f32_e32 v108, v108, v137
	v_cvt_i32_f32_e32 v133, v133
	v_exp_f32_e32 v107, v107
	v_cvt_i32_f32_e32 v135, v135
	v_cvt_i32_f32_e32 v137, v137
	v_exp_f32_e32 v109, v109
	v_cvt_i32_f32_e32 v139, v139
	v_cvt_i32_f32_e32 v143, v143
	v_ldexp_f32 v105, v105, v131
	ds_load_b128 v[92:95], v21 offset:64
	ds_load_b128 v[33:36], v21 offset:80
	;; [unrolled: 1-line block ×4, first 2 shown]
	v_ldexp_f32 v107, v107, v135
	v_ldexp_f32 v109, v109, v139
	s_waitcnt vmcnt(0)
	v_mul_f32_e32 v112, v68, v54
	v_add_f32_e32 v98, v98, v116
	v_add_f32_e32 v102, v102, v124
	v_fmac_f32_e32 v140, 0x32a5705f, v86
	s_waitcnt lgkmcnt(6)
	v_dual_fmac_f32 v142, 0x32a5705f, v87 :: v_dual_mul_f32 v37, v112, v37
	v_mul_f32_e32 v39, v112, v39
	v_exp_f32_e32 v98, v98
	v_sub_f32_e32 v110, v110, v141
	s_waitcnt lgkmcnt(5)
	v_mul_f32_e32 v25, v112, v25
	v_exp_f32_e32 v102, v102
	v_mul_f32_e32 v27, v112, v27
	v_add_f32_e32 v104, v104, v128
	v_add_f32_e32 v110, v110, v140
	v_fmac_f32_e32 v132, 0x32a5705f, v82
	v_dual_fmac_f32 v136, 0x32a5705f, v84 :: v_dual_add_f32 v111, v111, v142
	v_ldexp_f32 v98, v98, v117
	v_exp_f32_e32 v104, v104
	s_delay_alu instid0(VALU_DEP_3) | instskip(NEXT) | instid1(TRANS32_DEP_2)
	v_add_f32_e32 v106, v106, v132
	v_ldexp_f32 v102, v102, v125
	s_waitcnt lgkmcnt(4)
	v_mul_f32_e32 v19, v112, v19
	v_cndmask_b32_e64 v98, 0, v98, s0
	v_cmp_ngt_f32_e64 s0, 0xc2ce8ed0, v75
	v_exp_f32_e32 v106, v106
	v_add_f32_e32 v108, v108, v136
	v_exp_f32_e32 v110, v110
	v_cvt_i32_f32_e32 v141, v141
	v_cndmask_b32_e64 v99, 0, v99, s0
	v_cmp_ngt_f32_e64 s0, 0xc2ce8ed0, v76
	v_ldexp_f32 v104, v104, v129
	v_exp_f32_e32 v108, v108
	v_exp_f32_e32 v111, v111
	s_delay_alu instid0(VALU_DEP_2) | instskip(SKIP_3) | instid1(VALU_DEP_3)
	v_cndmask_b32_e64 v100, 0, v100, s0
	v_cmp_ngt_f32_e64 s0, 0xc2ce8ed0, v77
	v_ldexp_f32 v106, v106, v133
	v_ldexp_f32 v110, v110, v141
	v_cndmask_b32_e64 v101, 0, v101, s0
	v_cmp_ngt_f32_e64 s0, 0xc2ce8ed0, v78
	s_delay_alu instid0(TRANS32_DEP_2) | instskip(NEXT) | instid1(TRANS32_DEP_1)
	v_ldexp_f32 v108, v108, v137
	v_ldexp_f32 v111, v111, v143
	s_delay_alu instid0(VALU_DEP_3) | instskip(SKIP_1) | instid1(VALU_DEP_1)
	v_cndmask_b32_e64 v102, 0, v102, s0
	v_cmp_ngt_f32_e64 s0, 0xc2ce8ed0, v79
	v_cndmask_b32_e64 v103, 0, v103, s0
	v_cmp_ngt_f32_e64 s0, 0xc2ce8ed0, v80
	s_delay_alu instid0(VALU_DEP_1) | instskip(SKIP_1) | instid1(VALU_DEP_1)
	v_cndmask_b32_e64 v104, 0, v104, s0
	v_cmp_ngt_f32_e64 s0, 0xc2ce8ed0, v81
	v_cndmask_b32_e64 v105, 0, v105, s0
	v_cmp_ngt_f32_e64 s0, 0xc2ce8ed0, v82
	s_delay_alu instid0(VALU_DEP_1) | instskip(SKIP_1) | instid1(VALU_DEP_1)
	;; [unrolled: 5-line block ×3, first 2 shown]
	v_cndmask_b32_e64 v108, 0, v108, s0
	v_cmp_ngt_f32_e64 s0, 0xc2ce8ed0, v85
	v_cndmask_b32_e64 v109, 0, v109, s0
	v_cmp_ngt_f32_e64 s0, 0xc2ce8ed0, v86
	s_delay_alu instid0(VALU_DEP_1) | instskip(SKIP_2) | instid1(VALU_DEP_2)
	v_cndmask_b32_e64 v110, 0, v110, s0
	v_cmp_nlt_f32_e64 s0, 0x42b17218, v53
	v_mul_f32_e32 v53, v112, v88
	v_cndmask_b32_e64 v54, 0x7f800000, v96, s0
	v_cmp_ngt_f32_e64 s0, 0xc2ce8ed0, v87
	s_delay_alu instid0(VALU_DEP_2) | instskip(NEXT) | instid1(VALU_DEP_2)
	v_fmac_f32_e32 v53, v70, v54
	v_cndmask_b32_e64 v88, 0, v111, s0
	v_cmp_nlt_f32_e64 s0, 0x42b17218, v73
	v_mul_f32_e32 v73, v112, v89
	v_mul_f32_e32 v54, v112, v90
	s_delay_alu instid0(VALU_DEP_3) | instskip(SKIP_1) | instid1(VALU_DEP_2)
	v_cndmask_b32_e64 v68, 0x7f800000, v97, s0
	v_cmp_nlt_f32_e64 s0, 0x42b17218, v74
	v_fmac_f32_e32 v73, v72, v68
	s_delay_alu instid0(VALU_DEP_2)
	v_cndmask_b32_e64 v70, 0x7f800000, v98, s0
	v_cmp_nlt_f32_e64 s0, 0x42b17218, v75
	v_mul_f32_e32 v68, v112, v91
	s_waitcnt lgkmcnt(3)
	v_fma_f32 v72, v92, v53, 0
	v_fmac_f32_e32 v54, v71, v70
	v_cndmask_b32_e64 v74, 0x7f800000, v99, s0
	v_cmp_nlt_f32_e64 s0, 0x42b17218, v76
	s_delay_alu instid0(VALU_DEP_4) | instskip(NEXT) | instid1(VALU_DEP_3)
	v_fmac_f32_e32 v72, v93, v73
	v_fmac_f32_e32 v68, v69, v74
	s_delay_alu instid0(VALU_DEP_3) | instskip(SKIP_1) | instid1(VALU_DEP_2)
	v_cndmask_b32_e64 v70, 0x7f800000, v100, s0
	v_cmp_nlt_f32_e64 s0, 0x42b17218, v77
	v_fmac_f32_e32 v37, v56, v70
	s_delay_alu instid0(VALU_DEP_2) | instskip(SKIP_1) | instid1(VALU_DEP_1)
	v_cndmask_b32_e64 v69, 0x7f800000, v101, s0
	v_cmp_nlt_f32_e64 s0, 0x42b17218, v78
	v_cndmask_b32_e64 v56, 0x7f800000, v102, s0
	v_cmp_nlt_f32_e64 s0, 0x42b17218, v79
	s_delay_alu instid0(VALU_DEP_2)
	v_fmac_f32_e32 v39, v58, v56
	v_fmac_f32_e32 v72, v94, v54
	v_mul_f32_e32 v38, v112, v38
	v_mul_f32_e32 v26, v112, v26
	;; [unrolled: 1-line block ×4, first 2 shown]
	v_fmac_f32_e32 v72, v95, v68
	v_fmac_f32_e32 v38, v57, v69
	v_cndmask_b32_e64 v57, 0x7f800000, v103, s0
	v_cmp_nlt_f32_e64 s0, 0x42b17218, v80
	s_waitcnt lgkmcnt(2)
	v_dual_fmac_f32 v72, v33, v37 :: v_dual_mul_f32 v33, v112, v40
	s_delay_alu instid0(VALU_DEP_1) | instskip(NEXT) | instid1(VALU_DEP_3)
	v_fmac_f32_e32 v72, v34, v38
	v_cndmask_b32_e64 v34, 0x7f800000, v104, s0
	s_delay_alu instid0(VALU_DEP_3) | instskip(SKIP_1) | instid1(VALU_DEP_3)
	v_fmac_f32_e32 v33, v59, v57
	v_cmp_nlt_f32_e64 s0, 0x42b17218, v81
	v_dual_fmac_f32 v72, v35, v39 :: v_dual_fmac_f32 v25, v60, v34
	s_delay_alu instid0(VALU_DEP_2) | instskip(SKIP_1) | instid1(VALU_DEP_3)
	v_cndmask_b32_e64 v35, 0x7f800000, v105, s0
	v_cmp_nlt_f32_e64 s0, 0x42b17218, v82
	v_fmac_f32_e32 v72, v36, v33
	s_delay_alu instid0(VALU_DEP_3) | instskip(NEXT) | instid1(VALU_DEP_3)
	v_fmac_f32_e32 v26, v61, v35
	v_cndmask_b32_e64 v34, 0x7f800000, v106, s0
	s_waitcnt lgkmcnt(1)
	s_delay_alu instid0(VALU_DEP_3) | instskip(SKIP_3) | instid1(VALU_DEP_4)
	v_fmac_f32_e32 v72, v29, v25
	v_cmp_nlt_f32_e64 s0, 0x42b17218, v83
	v_mul_f32_e32 v29, v112, v17
	v_fmac_f32_e32 v27, v62, v34
	v_fmac_f32_e32 v72, v30, v26
	s_delay_alu instid0(VALU_DEP_4) | instskip(SKIP_1) | instid1(VALU_DEP_3)
	v_cndmask_b32_e64 v35, 0x7f800000, v107, s0
	v_cmp_nlt_f32_e64 s0, 0x42b17218, v84
	v_fmac_f32_e32 v72, v31, v27
	s_delay_alu instid0(VALU_DEP_3) | instskip(NEXT) | instid1(VALU_DEP_3)
	v_fmac_f32_e32 v28, v63, v35
	v_cndmask_b32_e64 v30, 0x7f800000, v108, s0
	v_cmp_nlt_f32_e64 s0, 0x42b17218, v85
	s_delay_alu instid0(VALU_DEP_3) | instskip(NEXT) | instid1(VALU_DEP_3)
	v_fmac_f32_e32 v72, v32, v28
	v_fmac_f32_e32 v29, v64, v30
	s_delay_alu instid0(VALU_DEP_3) | instskip(SKIP_2) | instid1(VALU_DEP_3)
	v_cndmask_b32_e64 v17, 0x7f800000, v109, s0
	v_cmp_nlt_f32_e64 s0, 0x42b17218, v86
	s_waitcnt lgkmcnt(0)
	v_fmac_f32_e32 v72, v21, v29
	s_delay_alu instid0(VALU_DEP_3) | instskip(NEXT) | instid1(VALU_DEP_3)
	v_dual_fmac_f32 v18, v65, v17 :: v_dual_mul_f32 v17, v112, v20
	v_cndmask_b32_e64 v30, 0x7f800000, v110, s0
	v_cmp_nlt_f32_e64 s0, 0x42b17218, v87
	s_delay_alu instid0(VALU_DEP_3) | instskip(NEXT) | instid1(VALU_DEP_3)
	v_fmac_f32_e32 v72, v22, v18
	v_fmac_f32_e32 v19, v66, v30
	s_delay_alu instid0(VALU_DEP_3) | instskip(NEXT) | instid1(VALU_DEP_2)
	v_cndmask_b32_e64 v21, 0x7f800000, v88, s0
	v_fmac_f32_e32 v72, v23, v19
	s_delay_alu instid0(VALU_DEP_2) | instskip(SKIP_1) | instid1(VALU_DEP_2)
	v_fmac_f32_e32 v17, v67, v21
	v_mad_i64_i32 v[20:21], null, s16, 12, v[47:48]
	v_fmac_f32_e32 v72, v24, v17
	global_store_b32 v[20:21], v72, off
	s_waitcnt_vscnt null, 0x0
	s_barrier
	buffer_gl0_inv
	s_and_saveexec_b32 s0, vcc_lo
	s_cbranch_execz .LBB6_18
; %bb.17:
	s_lshl_b64 s[2:3], s[2:3], 4
	s_delay_alu instid0(SALU_CYCLE_1) | instskip(SKIP_2) | instid1(SALU_CYCLE_1)
	v_add_co_u32 v20, vcc_lo, v45, s2
	v_add_co_ci_u32_e32 v21, vcc_lo, s3, v46, vcc_lo
	s_lshl_b64 s[2:3], s[10:11], 4
	v_add_co_u32 v22, vcc_lo, v43, s2
	v_add_co_ci_u32_e32 v23, vcc_lo, s3, v44, vcc_lo
	global_load_b32 v20, v[20:21], off
	global_load_b32 v21, v[22:23], off
	s_waitcnt vmcnt(1)
	ds_store_b32 v55, v20
	s_waitcnt vmcnt(0)
	ds_store_b32 v0, v21
.LBB6_18:
	s_or_b32 exec_lo, exec_lo, s0
	v_add_co_u32 v20, vcc_lo, v51, s8
	v_add_co_ci_u32_e32 v21, vcc_lo, s9, v52, vcc_lo
	s_waitcnt lgkmcnt(0)
	s_barrier
	buffer_gl0_inv
	global_load_b32 v0, v[20:21], off
	s_mov_b32 s1, exec_lo
	s_waitcnt vmcnt(0)
	v_cmpx_ge_f32_e32 0x41a00000, v0
	s_cbranch_execz .LBB6_20
; %bb.19:
	v_mul_f32_e32 v20, 0x3fb8aa3b, v0
	v_cmp_ngt_f32_e32 vcc_lo, 0xc2ce8ed0, v0
	s_mov_b32 s0, 0x3e9b6dac
	s_delay_alu instid0(VALU_DEP_2) | instskip(SKIP_1) | instid1(VALU_DEP_2)
	v_rndne_f32_e32 v21, v20
	v_fma_f32 v22, 0x3fb8aa3b, v0, -v20
	v_sub_f32_e32 v20, v20, v21
	s_delay_alu instid0(VALU_DEP_2) | instskip(SKIP_1) | instid1(VALU_DEP_2)
	v_fmamk_f32 v22, v0, 0x32a5705f, v22
	v_cvt_i32_f32_e32 v21, v21
	v_add_f32_e32 v20, v20, v22
	s_delay_alu instid0(VALU_DEP_1) | instskip(SKIP_2) | instid1(VALU_DEP_1)
	v_exp_f32_e32 v20, v20
	s_waitcnt_depctr 0xfff
	v_ldexp_f32 v20, v20, v21
	v_cndmask_b32_e32 v20, 0, v20, vcc_lo
	v_cmp_nlt_f32_e32 vcc_lo, 0x42b17218, v0
	s_delay_alu instid0(VALU_DEP_2) | instskip(NEXT) | instid1(VALU_DEP_1)
	v_cndmask_b32_e32 v0, 0x7f800000, v20, vcc_lo
	v_add_f32_e32 v22, 1.0, v0
	s_delay_alu instid0(VALU_DEP_1) | instskip(NEXT) | instid1(VALU_DEP_1)
	v_cvt_f64_f32_e32 v[20:21], v22
	v_frexp_exp_i32_f64_e32 v20, v[20:21]
	v_frexp_mant_f32_e32 v21, v22
	s_delay_alu instid0(VALU_DEP_1) | instskip(SKIP_1) | instid1(VALU_DEP_1)
	v_cmp_gt_f32_e32 vcc_lo, 0x3f2aaaab, v21
	v_add_f32_e32 v21, -1.0, v22
	v_dual_sub_f32 v24, v21, v22 :: v_dual_sub_f32 v21, v0, v21
	s_delay_alu instid0(VALU_DEP_1) | instskip(NEXT) | instid1(VALU_DEP_1)
	v_add_f32_e32 v24, 1.0, v24
	v_add_f32_e32 v21, v21, v24
	v_subrev_co_ci_u32_e32 v20, vcc_lo, 0, v20, vcc_lo
	s_delay_alu instid0(VALU_DEP_1) | instskip(SKIP_1) | instid1(VALU_DEP_2)
	v_sub_nc_u32_e32 v23, 0, v20
	v_cvt_f32_i32_e32 v20, v20
	v_ldexp_f32 v22, v22, v23
	v_ldexp_f32 v21, v21, v23
	s_delay_alu instid0(VALU_DEP_2) | instskip(SKIP_2) | instid1(VALU_DEP_2)
	v_add_f32_e32 v30, 1.0, v22
	v_add_f32_e32 v23, -1.0, v22
	v_cmp_eq_f32_e32 vcc_lo, 0x7f800000, v0
	v_dual_add_f32 v24, -1.0, v30 :: v_dual_add_f32 v31, 1.0, v23
	s_delay_alu instid0(VALU_DEP_1) | instskip(NEXT) | instid1(VALU_DEP_2)
	v_sub_f32_e32 v24, v22, v24
	v_sub_f32_e32 v22, v22, v31
	s_delay_alu instid0(VALU_DEP_2) | instskip(NEXT) | instid1(VALU_DEP_2)
	v_add_f32_e32 v24, v21, v24
	v_add_f32_e32 v21, v21, v22
	s_delay_alu instid0(VALU_DEP_1) | instskip(NEXT) | instid1(VALU_DEP_1)
	v_add_f32_e32 v32, v23, v21
	v_sub_f32_e32 v23, v23, v32
	s_delay_alu instid0(VALU_DEP_1) | instskip(SKIP_1) | instid1(VALU_DEP_1)
	v_add_f32_e32 v21, v21, v23
	v_add_f32_e32 v31, v30, v24
	v_rcp_f32_e32 v22, v31
	v_sub_f32_e32 v30, v30, v31
	s_delay_alu instid0(VALU_DEP_1) | instskip(SKIP_2) | instid1(VALU_DEP_1)
	v_add_f32_e32 v24, v24, v30
	s_waitcnt_depctr 0xfff
	v_mul_f32_e32 v34, v32, v22
	v_mul_f32_e32 v35, v31, v34
	s_delay_alu instid0(VALU_DEP_1) | instskip(NEXT) | instid1(VALU_DEP_1)
	v_fma_f32 v30, v34, v31, -v35
	v_fmac_f32_e32 v30, v34, v24
	s_delay_alu instid0(VALU_DEP_1) | instskip(NEXT) | instid1(VALU_DEP_1)
	v_add_f32_e32 v36, v35, v30
	v_sub_f32_e32 v40, v32, v36
	v_sub_f32_e32 v23, v36, v35
	s_delay_alu instid0(VALU_DEP_1) | instskip(NEXT) | instid1(VALU_DEP_1)
	v_dual_sub_f32 v32, v32, v40 :: v_dual_sub_f32 v23, v23, v30
	v_sub_f32_e32 v32, v32, v36
	s_delay_alu instid0(VALU_DEP_1) | instskip(NEXT) | instid1(VALU_DEP_1)
	v_add_f32_e32 v21, v21, v32
	v_add_f32_e32 v21, v23, v21
	s_delay_alu instid0(VALU_DEP_1) | instskip(NEXT) | instid1(VALU_DEP_1)
	v_add_f32_e32 v23, v40, v21
	v_sub_f32_e32 v36, v40, v23
	s_delay_alu instid0(VALU_DEP_1) | instskip(NEXT) | instid1(VALU_DEP_1)
	v_dual_mul_f32 v30, v22, v23 :: v_dual_add_f32 v21, v21, v36
	v_mul_f32_e32 v32, v31, v30
	s_delay_alu instid0(VALU_DEP_1) | instskip(NEXT) | instid1(VALU_DEP_1)
	v_fma_f32 v31, v30, v31, -v32
	v_fmac_f32_e32 v31, v30, v24
	s_delay_alu instid0(VALU_DEP_1) | instskip(NEXT) | instid1(VALU_DEP_1)
	v_add_f32_e32 v24, v32, v31
	v_sub_f32_e32 v35, v23, v24
	s_delay_alu instid0(VALU_DEP_1) | instskip(NEXT) | instid1(VALU_DEP_1)
	v_dual_sub_f32 v32, v24, v32 :: v_dual_sub_f32 v23, v23, v35
	v_dual_sub_f32 v23, v23, v24 :: v_dual_sub_f32 v24, v32, v31
	s_delay_alu instid0(VALU_DEP_1) | instskip(SKIP_1) | instid1(VALU_DEP_1)
	v_add_f32_e32 v21, v21, v23
	v_add_f32_e32 v23, v34, v30
	v_dual_add_f32 v21, v24, v21 :: v_dual_sub_f32 v24, v23, v34
	s_delay_alu instid0(VALU_DEP_1) | instskip(NEXT) | instid1(VALU_DEP_1)
	v_dual_add_f32 v21, v35, v21 :: v_dual_sub_f32 v24, v30, v24
	v_mul_f32_e32 v21, v22, v21
	s_delay_alu instid0(VALU_DEP_1) | instskip(NEXT) | instid1(VALU_DEP_1)
	v_add_f32_e32 v21, v24, v21
	v_add_f32_e32 v22, v23, v21
	s_delay_alu instid0(VALU_DEP_1) | instskip(NEXT) | instid1(VALU_DEP_1)
	v_mul_f32_e32 v24, v22, v22
	v_fmaak_f32 v30, s0, v24, 0x3ecc95a3
	v_mul_f32_e32 v31, v22, v24
	v_cmp_gt_f32_e64 s0, 0x33800000, v0
	s_delay_alu instid0(VALU_DEP_3) | instskip(SKIP_2) | instid1(VALU_DEP_4)
	v_fmaak_f32 v24, v24, v30, 0x3f2aaada
	v_ldexp_f32 v30, v22, 1
	v_sub_f32_e32 v22, v22, v23
	s_or_b32 vcc_lo, s0, vcc_lo
	s_delay_alu instid0(VALU_DEP_3) | instskip(SKIP_1) | instid1(VALU_DEP_3)
	v_mul_f32_e32 v24, v31, v24
	v_mul_f32_e32 v31, 0x3f317218, v20
	v_sub_f32_e32 v21, v21, v22
	s_delay_alu instid0(VALU_DEP_3) | instskip(NEXT) | instid1(VALU_DEP_2)
	v_add_f32_e32 v23, v30, v24
	v_ldexp_f32 v21, v21, 1
	s_delay_alu instid0(VALU_DEP_2) | instskip(SKIP_1) | instid1(VALU_DEP_2)
	v_sub_f32_e32 v22, v23, v30
	v_fma_f32 v30, 0x3f317218, v20, -v31
	v_sub_f32_e32 v22, v24, v22
	s_delay_alu instid0(VALU_DEP_1) | instskip(NEXT) | instid1(VALU_DEP_1)
	v_dual_fmamk_f32 v20, v20, 0xb102e308, v30 :: v_dual_add_f32 v21, v21, v22
	v_add_f32_e32 v22, v31, v20
	s_delay_alu instid0(VALU_DEP_1) | instskip(NEXT) | instid1(VALU_DEP_1)
	v_dual_add_f32 v24, v23, v21 :: v_dual_sub_f32 v31, v22, v31
	v_dual_add_f32 v30, v22, v24 :: v_dual_sub_f32 v23, v24, v23
	s_delay_alu instid0(VALU_DEP_2) | instskip(NEXT) | instid1(VALU_DEP_2)
	v_sub_f32_e32 v20, v20, v31
	v_dual_sub_f32 v32, v30, v22 :: v_dual_sub_f32 v21, v21, v23
	s_delay_alu instid0(VALU_DEP_1) | instskip(SKIP_1) | instid1(VALU_DEP_3)
	v_sub_f32_e32 v34, v30, v32
	v_sub_f32_e32 v23, v24, v32
	v_add_f32_e32 v24, v20, v21
	s_delay_alu instid0(VALU_DEP_3) | instskip(NEXT) | instid1(VALU_DEP_1)
	v_sub_f32_e32 v22, v22, v34
	v_dual_add_f32 v22, v23, v22 :: v_dual_sub_f32 v23, v24, v20
	s_delay_alu instid0(VALU_DEP_1) | instskip(NEXT) | instid1(VALU_DEP_2)
	v_add_f32_e32 v22, v24, v22
	v_sub_f32_e32 v24, v24, v23
	v_sub_f32_e32 v21, v21, v23
	s_delay_alu instid0(VALU_DEP_2) | instskip(NEXT) | instid1(VALU_DEP_1)
	v_dual_add_f32 v31, v30, v22 :: v_dual_sub_f32 v20, v20, v24
	v_dual_sub_f32 v23, v31, v30 :: v_dual_add_f32 v20, v21, v20
	s_delay_alu instid0(VALU_DEP_1) | instskip(NEXT) | instid1(VALU_DEP_1)
	v_sub_f32_e32 v21, v22, v23
	v_add_f32_e32 v20, v20, v21
	s_delay_alu instid0(VALU_DEP_1) | instskip(NEXT) | instid1(VALU_DEP_1)
	v_add_f32_e32 v20, v31, v20
	v_cndmask_b32_e32 v0, v20, v0, vcc_lo
.LBB6_20:
	s_or_b32 exec_lo, exec_lo, s1
	v_add_co_u32 v20, vcc_lo, v49, s6
	v_add_co_ci_u32_e32 v21, vcc_lo, s7, v50, vcc_lo
	s_delay_alu instid0(VALU_DEP_3)
	v_dual_mul_f32 v30, v0, v13 :: v_dual_mov_b32 v31, 0
	v_mul_f32_e32 v35, v0, v16
	global_load_b32 v24, v[20:21], off
	v_dual_mul_f32 v59, v0, v11 :: v_dual_mul_f32 v70, 0x3fb8aa3b, v30
	v_dual_mul_f32 v61, v0, v5 :: v_dual_mul_f32 v74, 0x3fb8aa3b, v35
	v_mul_f32_e32 v40, v0, v10
	s_delay_alu instid0(VALU_DEP_3) | instskip(NEXT) | instid1(VALU_DEP_3)
	v_dual_mul_f32 v36, v0, v9 :: v_dual_mul_f32 v77, 0x3fb8aa3b, v59
	v_mul_f32_e32 v79, 0x3fb8aa3b, v61
	s_delay_alu instid0(VALU_DEP_3) | instskip(SKIP_1) | instid1(VALU_DEP_4)
	v_dual_mul_f32 v63, v0, v7 :: v_dual_mul_f32 v76, 0x3fb8aa3b, v40
	v_mul_f32_e32 v60, v0, v12
	v_dual_mul_f32 v32, v0, v14 :: v_dual_mul_f32 v75, 0x3fb8aa3b, v36
	s_delay_alu instid0(VALU_DEP_3) | instskip(NEXT) | instid1(VALU_DEP_3)
	v_mul_f32_e32 v81, 0x3fb8aa3b, v63
	v_dual_mul_f32 v65, v0, v1 :: v_dual_mul_f32 v78, 0x3fb8aa3b, v60
	v_mul_f32_e32 v62, v0, v6
	s_delay_alu instid0(VALU_DEP_4) | instskip(NEXT) | instid1(VALU_DEP_3)
	v_dual_mul_f32 v34, v0, v15 :: v_dual_mul_f32 v71, 0x3fb8aa3b, v32
	v_mul_f32_e32 v83, 0x3fb8aa3b, v65
	s_delay_alu instid0(VALU_DEP_3) | instskip(SKIP_3) | instid1(VALU_DEP_4)
	v_dual_mul_f32 v67, v0, v3 :: v_dual_mul_f32 v80, 0x3fb8aa3b, v62
	v_mul_f32_e32 v69, v0, v4
	v_fma_f32 v86, 0x3fb8aa3b, v30, -v70
	v_rndne_f32_e32 v87, v70
	v_mul_f32_e32 v84, 0x3fb8aa3b, v67
	s_delay_alu instid0(VALU_DEP_4)
	v_dual_mul_f32 v66, v0, v2 :: v_dual_mul_f32 v85, 0x3fb8aa3b, v69
	v_mul_f32_e32 v64, v0, v8
	ds_load_b128 v[1:4], v31
	ds_load_b128 v[5:8], v31 offset:16
	ds_load_b128 v[9:12], v31 offset:32
	;; [unrolled: 1-line block ×7, first 2 shown]
	v_mul_f32_e32 v31, 0x3fb8aa3b, v66
	v_mul_f32_e32 v72, 0x3fb8aa3b, v34
	v_fma_f32 v88, 0x3fb8aa3b, v32, -v71
	v_rndne_f32_e32 v89, v71
	v_rndne_f32_e32 v95, v75
	;; [unrolled: 1-line block ×3, first 2 shown]
	v_fmac_f32_e32 v86, 0x32a5705f, v30
	v_sub_f32_e32 v70, v70, v87
	v_dual_mul_f32 v82, 0x3fb8aa3b, v64 :: v_dual_sub_f32 v71, v71, v89
	v_fma_f32 v90, 0x3fb8aa3b, v34, -v72
	v_rndne_f32_e32 v91, v72
	v_fma_f32 v92, 0x3fb8aa3b, v35, -v74
	v_fma_f32 v94, 0x3fb8aa3b, v36, -v75
	v_rndne_f32_e32 v99, v77
	v_fma_f32 v112, 0x3fb8aa3b, v66, -v31
	v_fma_f32 v114, 0x3fb8aa3b, v67, -v84
	v_dual_fmac_f32 v88, 0x32a5705f, v32 :: v_dual_sub_f32 v75, v75, v95
	v_sub_f32_e32 v31, v31, v113
	v_rndne_f32_e32 v93, v74
	v_fma_f32 v98, 0x3fb8aa3b, v59, -v77
	v_sub_f32_e32 v77, v77, v99
	v_rndne_f32_e32 v103, v79
	v_rndne_f32_e32 v117, v85
	v_fmac_f32_e32 v90, 0x32a5705f, v34
	v_sub_f32_e32 v72, v72, v91
	v_dual_fmac_f32 v92, 0x32a5705f, v35 :: v_dual_add_f32 v71, v71, v88
	v_fma_f32 v102, 0x3fb8aa3b, v61, -v79
	v_rndne_f32_e32 v107, v81
	v_fma_f32 v116, 0x3fb8aa3b, v69, -v85
	v_cvt_i32_f32_e32 v87, v87
	v_dual_sub_f32 v74, v74, v93 :: v_dual_sub_f32 v79, v79, v103
	v_dual_sub_f32 v85, v85, v117 :: v_dual_add_f32 v72, v72, v90
	v_exp_f32_e32 v71, v71
	v_fma_f32 v96, 0x3fb8aa3b, v40, -v76
	v_rndne_f32_e32 v97, v76
	v_fma_f32 v106, 0x3fb8aa3b, v63, -v81
	v_rndne_f32_e32 v111, v83
	v_cvt_i32_f32_e32 v89, v89
	v_dual_fmac_f32 v94, 0x32a5705f, v36 :: v_dual_sub_f32 v81, v81, v107
	v_fmac_f32_e32 v112, 0x32a5705f, v66
	v_fmac_f32_e32 v102, 0x32a5705f, v61
	v_exp_f32_e32 v72, v72
	v_cmp_ngt_f32_e32 vcc_lo, 0xc2ce8ed0, v30
	v_rndne_f32_e32 v105, v80
	v_add_f32_e32 v31, v31, v112
	v_fma_f32 v110, 0x3fb8aa3b, v65, -v83
	v_cvt_i32_f32_e32 v91, v91
	v_dual_fmac_f32 v98, 0x32a5705f, v59 :: v_dual_add_f32 v79, v79, v102
	v_dual_sub_f32 v76, v76, v97 :: v_dual_sub_f32 v83, v83, v111
	v_dual_fmac_f32 v96, 0x32a5705f, v40 :: v_dual_add_f32 v75, v75, v94
	v_ldexp_f32 v71, v71, v89
	v_fma_f32 v104, 0x3fb8aa3b, v62, -v80
	v_cvt_i32_f32_e32 v93, v93
	s_delay_alu instid0(VALU_DEP_4)
	v_dual_add_f32 v77, v77, v98 :: v_dual_add_f32 v76, v76, v96
	v_exp_f32_e32 v75, v75
	v_ldexp_f32 v72, v72, v91
	v_cvt_i32_f32_e32 v95, v95
	v_fma_f32 v108, 0x3fb8aa3b, v64, -v82
	v_exp_f32_e32 v76, v76
	v_cvt_i32_f32_e32 v97, v97
	v_exp_f32_e32 v77, v77
	v_cvt_i32_f32_e32 v99, v99
	v_fma_f32 v100, 0x3fb8aa3b, v60, -v78
	v_rndne_f32_e32 v101, v78
	v_ldexp_f32 v75, v75, v95
	v_fmac_f32_e32 v110, 0x32a5705f, v65
	v_exp_f32_e32 v31, v31
	v_cvt_i32_f32_e32 v113, v113
	v_ldexp_f32 v76, v76, v97
	s_delay_alu instid0(VALU_DEP_3)
	v_dual_sub_f32 v78, v78, v101 :: v_dual_add_f32 v83, v83, v110
	v_ldexp_f32 v77, v77, v99
	v_cvt_i32_f32_e32 v101, v101
	v_exp_f32_e32 v79, v79
	v_rndne_f32_e32 v109, v82
	v_cvt_i32_f32_e32 v103, v103
	s_delay_alu instid0(TRANS32_DEP_2)
	v_ldexp_f32 v31, v31, v113
	v_fmac_f32_e32 v116, 0x32a5705f, v69
	v_fmac_f32_e32 v104, 0x32a5705f, v62
	v_rndne_f32_e32 v115, v84
	v_cvt_i32_f32_e32 v107, v107
	v_exp_f32_e32 v83, v83
	v_add_f32_e32 v85, v85, v116
	v_ldexp_f32 v79, v79, v103
	v_cvt_i32_f32_e32 v111, v111
	v_cvt_i32_f32_e32 v117, v117
	s_add_u32 s0, s30, s20
	v_exp_f32_e32 v85, v85
	s_mul_i32 s1, s14, s5
	s_addc_u32 s2, s31, s21
	s_add_u32 s0, s0, s1
	s_waitcnt_depctr 0xfff
	v_ldexp_f32 v83, v83, v111
	s_addc_u32 s1, s2, 0
	s_ashr_i64 s[2:3], s[12:13], 28
	s_add_u32 s0, s0, s29
	s_addc_u32 s1, s1, s28
	v_ldexp_f32 v85, v85, v117
	s_waitcnt vmcnt(0)
	v_mul_f32_e32 v24, v0, v24
	v_add_f32_e32 v70, v70, v86
	v_fmac_f32_e32 v114, 0x32a5705f, v67
	v_add_f32_e32 v74, v74, v92
	s_waitcnt lgkmcnt(7)
	v_mul_f32_e32 v0, v24, v1
	v_mul_f32_e32 v1, v24, v2
	;; [unrolled: 1-line block ×4, first 2 shown]
	v_exp_f32_e32 v70, v70
	s_waitcnt lgkmcnt(6)
	v_mul_f32_e32 v4, v24, v5
	v_mul_f32_e32 v5, v24, v6
	v_exp_f32_e32 v74, v74
	v_mul_f32_e32 v6, v24, v7
	v_sub_f32_e32 v84, v84, v115
	v_cvt_i32_f32_e32 v115, v115
	v_mul_f32_e32 v7, v24, v8
	s_waitcnt lgkmcnt(5)
	v_mul_f32_e32 v8, v24, v9
	v_mul_f32_e32 v9, v24, v10
	v_ldexp_f32 v70, v70, v87
	v_mul_f32_e32 v10, v24, v11
	v_mul_f32_e32 v11, v24, v12
	v_ldexp_f32 v74, v74, v93
	s_waitcnt lgkmcnt(4)
	v_mul_f32_e32 v12, v24, v13
	v_cndmask_b32_e32 v70, 0, v70, vcc_lo
	v_cmp_ngt_f32_e32 vcc_lo, 0xc2ce8ed0, v32
	v_sub_f32_e32 v80, v80, v105
	v_cvt_i32_f32_e32 v105, v105
	v_mul_f32_e32 v13, v24, v14
	v_mul_f32_e32 v14, v24, v15
	v_cndmask_b32_e32 v71, 0, v71, vcc_lo
	v_cmp_ngt_f32_e32 vcc_lo, 0xc2ce8ed0, v34
	v_add_f32_e32 v80, v80, v104
	v_mul_f32_e32 v15, v24, v16
	v_cndmask_b32_e32 v72, 0, v72, vcc_lo
	v_cmp_ngt_f32_e32 vcc_lo, 0xc2ce8ed0, v35
	s_delay_alu instid0(VALU_DEP_4)
	v_exp_f32_e32 v80, v80
	v_cndmask_b32_e32 v74, 0, v74, vcc_lo
	v_cmp_ngt_f32_e32 vcc_lo, 0xc2ce8ed0, v36
	v_dual_fmac_f32 v108, 0x32a5705f, v64 :: v_dual_cndmask_b32 v75, 0, v75
	v_cmp_ngt_f32_e32 vcc_lo, 0xc2ce8ed0, v40
	s_waitcnt_depctr 0xfff
	v_ldexp_f32 v80, v80, v105
	v_cndmask_b32_e32 v76, 0, v76, vcc_lo
	v_cmp_ngt_f32_e32 vcc_lo, 0xc2ce8ed0, v59
	v_dual_fmac_f32 v106, 0x32a5705f, v63 :: v_dual_cndmask_b32 v77, 0, v77
	s_delay_alu instid0(VALU_DEP_1) | instskip(SKIP_1) | instid1(VALU_DEP_2)
	v_dual_fmac_f32 v100, 0x32a5705f, v60 :: v_dual_add_f32 v81, v81, v106
	v_cmp_ngt_f32_e32 vcc_lo, 0xc2ce8ed0, v60
	v_add_f32_e32 v78, v78, v100
	s_delay_alu instid0(VALU_DEP_3) | instskip(NEXT) | instid1(VALU_DEP_1)
	v_exp_f32_e32 v81, v81
	v_exp_f32_e32 v78, v78
	s_waitcnt_depctr 0xfff
	v_ldexp_f32 v81, v81, v107
	v_ldexp_f32 v78, v78, v101
	s_delay_alu instid0(VALU_DEP_1) | instskip(SKIP_3) | instid1(VALU_DEP_2)
	v_cndmask_b32_e32 v78, 0, v78, vcc_lo
	v_cmp_ngt_f32_e32 vcc_lo, 0xc2ce8ed0, v61
	v_sub_f32_e32 v82, v82, v109
	v_cvt_i32_f32_e32 v109, v109
	v_dual_cndmask_b32 v79, 0, v79 :: v_dual_add_f32 v82, v82, v108
	v_cmp_ngt_f32_e32 vcc_lo, 0xc2ce8ed0, v62
	s_delay_alu instid0(VALU_DEP_2)
	v_exp_f32_e32 v82, v82
	v_cndmask_b32_e32 v80, 0, v80, vcc_lo
	v_cmp_ngt_f32_e32 vcc_lo, 0xc2ce8ed0, v63
	v_dual_cndmask_b32 v81, 0, v81 :: v_dual_add_f32 v84, v84, v114
	v_cmp_ngt_f32_e32 vcc_lo, 0xc2ce8ed0, v64
	s_waitcnt_depctr 0xfff
	v_ldexp_f32 v82, v82, v109
	v_exp_f32_e32 v84, v84
	s_delay_alu instid0(VALU_DEP_1)
	v_cndmask_b32_e32 v82, 0, v82, vcc_lo
	v_cmp_ngt_f32_e32 vcc_lo, 0xc2ce8ed0, v65
	v_cndmask_b32_e32 v83, 0, v83, vcc_lo
	v_cmp_ngt_f32_e32 vcc_lo, 0xc2ce8ed0, v66
	s_waitcnt_depctr 0xfff
	v_ldexp_f32 v84, v84, v115
	v_cndmask_b32_e32 v31, 0, v31, vcc_lo
	v_cmp_ngt_f32_e32 vcc_lo, 0xc2ce8ed0, v67
	s_delay_alu instid0(VALU_DEP_3) | instskip(SKIP_3) | instid1(VALU_DEP_2)
	v_cndmask_b32_e32 v84, 0, v84, vcc_lo
	v_cmp_nlt_f32_e32 vcc_lo, 0x42b17218, v30
	v_cndmask_b32_e32 v30, 0x7f800000, v70, vcc_lo
	v_cmp_ngt_f32_e32 vcc_lo, 0xc2ce8ed0, v69
	v_fmac_f32_e32 v0, v53, v30
	v_cndmask_b32_e32 v70, 0, v85, vcc_lo
	v_cmp_nlt_f32_e32 vcc_lo, 0x42b17218, v32
	s_waitcnt lgkmcnt(3)
	s_delay_alu instid0(VALU_DEP_3) | instskip(SKIP_2) | instid1(VALU_DEP_2)
	v_fma_f32 v20, v20, v0, 0
	v_cndmask_b32_e32 v32, 0x7f800000, v71, vcc_lo
	v_cmp_nlt_f32_e32 vcc_lo, 0x42b17218, v34
	v_fmac_f32_e32 v1, v73, v32
	v_cndmask_b32_e32 v30, 0x7f800000, v72, vcc_lo
	v_cmp_nlt_f32_e32 vcc_lo, 0x42b17218, v35
	s_delay_alu instid0(VALU_DEP_3) | instskip(NEXT) | instid1(VALU_DEP_3)
	v_fmac_f32_e32 v20, v21, v1
	v_fmac_f32_e32 v2, v54, v30
	v_cndmask_b32_e32 v32, 0x7f800000, v74, vcc_lo
	v_cmp_nlt_f32_e32 vcc_lo, 0x42b17218, v36
	s_delay_alu instid0(VALU_DEP_2) | instskip(SKIP_2) | instid1(VALU_DEP_3)
	v_dual_fmac_f32 v20, v22, v2 :: v_dual_fmac_f32 v3, v68, v32
	v_cndmask_b32_e32 v21, 0x7f800000, v75, vcc_lo
	v_cmp_nlt_f32_e32 vcc_lo, 0x42b17218, v40
	v_fmac_f32_e32 v20, v23, v3
	s_delay_alu instid0(VALU_DEP_3) | instskip(SKIP_3) | instid1(VALU_DEP_2)
	v_fmac_f32_e32 v4, v37, v21
	v_cndmask_b32_e32 v22, 0x7f800000, v76, vcc_lo
	v_cmp_nlt_f32_e32 vcc_lo, 0x42b17218, v59
	s_waitcnt lgkmcnt(2)
	v_dual_fmac_f32 v20, v43, v4 :: v_dual_fmac_f32 v5, v38, v22
	v_cndmask_b32_e32 v21, 0x7f800000, v77, vcc_lo
	v_cmp_nlt_f32_e32 vcc_lo, 0x42b17218, v60
	s_delay_alu instid0(VALU_DEP_3) | instskip(NEXT) | instid1(VALU_DEP_3)
	v_fmac_f32_e32 v20, v44, v5
	v_fmac_f32_e32 v6, v39, v21
	v_cndmask_b32_e32 v22, 0x7f800000, v78, vcc_lo
	v_cmp_nlt_f32_e32 vcc_lo, 0x42b17218, v61
	s_delay_alu instid0(VALU_DEP_3) | instskip(NEXT) | instid1(VALU_DEP_3)
	v_fmac_f32_e32 v20, v45, v6
	v_fmac_f32_e32 v7, v33, v22
	;; [unrolled: 5-line block ×3, first 2 shown]
	v_cndmask_b32_e32 v22, 0x7f800000, v80, vcc_lo
	v_cmp_nlt_f32_e32 vcc_lo, 0x42b17218, v63
	s_waitcnt lgkmcnt(1)
	s_delay_alu instid0(VALU_DEP_2) | instskip(SKIP_2) | instid1(VALU_DEP_3)
	v_dual_fmac_f32 v20, v49, v8 :: v_dual_fmac_f32 v9, v26, v22
	v_cndmask_b32_e32 v21, 0x7f800000, v81, vcc_lo
	v_cmp_nlt_f32_e32 vcc_lo, 0x42b17218, v64
	v_fmac_f32_e32 v20, v50, v9
	s_delay_alu instid0(VALU_DEP_3) | instskip(SKIP_2) | instid1(VALU_DEP_3)
	v_fmac_f32_e32 v10, v27, v21
	v_cndmask_b32_e32 v22, 0x7f800000, v82, vcc_lo
	v_cmp_nlt_f32_e32 vcc_lo, 0x42b17218, v65
	v_fmac_f32_e32 v20, v51, v10
	s_delay_alu instid0(VALU_DEP_3) | instskip(SKIP_2) | instid1(VALU_DEP_3)
	v_fmac_f32_e32 v11, v28, v22
	v_cndmask_b32_e32 v21, 0x7f800000, v83, vcc_lo
	v_cmp_nlt_f32_e32 vcc_lo, 0x42b17218, v66
	v_fmac_f32_e32 v20, v52, v11
	s_delay_alu instid0(VALU_DEP_3) | instskip(SKIP_3) | instid1(VALU_DEP_2)
	v_fmac_f32_e32 v12, v29, v21
	v_cndmask_b32_e32 v22, 0x7f800000, v31, vcc_lo
	v_cmp_nlt_f32_e32 vcc_lo, 0x42b17218, v67
	s_waitcnt lgkmcnt(0)
	v_dual_fmac_f32 v20, v55, v12 :: v_dual_fmac_f32 v13, v18, v22
	v_cndmask_b32_e32 v21, 0x7f800000, v84, vcc_lo
	v_cmp_nlt_f32_e32 vcc_lo, 0x42b17218, v69
	s_delay_alu instid0(VALU_DEP_3) | instskip(NEXT) | instid1(VALU_DEP_3)
	v_fmac_f32_e32 v20, v56, v13
	v_fmac_f32_e32 v14, v19, v21
	v_cndmask_b32_e32 v18, 0x7f800000, v70, vcc_lo
	v_add_co_u32 v16, vcc_lo, v47, s2
	s_delay_alu instid0(VALU_DEP_3) | instskip(NEXT) | instid1(VALU_DEP_3)
	v_fmac_f32_e32 v20, v57, v14
	v_fmac_f32_e32 v15, v17, v18
	v_add_co_ci_u32_e32 v17, vcc_lo, s3, v48, vcc_lo
	v_add_co_u32 v18, vcc_lo, s0, v41
	s_delay_alu instid0(VALU_DEP_3)
	v_fmac_f32_e32 v20, v58, v15
	v_add_co_ci_u32_e32 v19, vcc_lo, s1, v42, vcc_lo
	global_store_b32 v[16:17], v20, off
	s_waitcnt_vscnt null, 0x0
	s_barrier
	buffer_gl0_inv
	s_clause 0x3
	global_store_b128 v[18:19], v[0:3], off
	global_store_b128 v[18:19], v[4:7], off offset:16
	global_store_b128 v[18:19], v[8:11], off offset:32
	;; [unrolled: 1-line block ×3, first 2 shown]
	s_nop 0
	s_sendmsg sendmsg(MSG_DEALLOC_VGPRS)
	s_endpgm
	.section	.rodata,"a",@progbits
	.p2align	6, 0x0
	.amdhsa_kernel _Z12ssm_scan_f32ILm128ELm16ELm5EEvPKfS1_S1_S1_S1_S1_PKiPfiiiiiiiiiiilll
		.amdhsa_group_segment_fixed_size 128
		.amdhsa_private_segment_fixed_size 0
		.amdhsa_kernarg_size 136
		.amdhsa_user_sgpr_count 14
		.amdhsa_user_sgpr_dispatch_ptr 0
		.amdhsa_user_sgpr_queue_ptr 0
		.amdhsa_user_sgpr_kernarg_segment_ptr 1
		.amdhsa_user_sgpr_dispatch_id 0
		.amdhsa_user_sgpr_private_segment_size 0
		.amdhsa_wavefront_size32 1
		.amdhsa_uses_dynamic_stack 0
		.amdhsa_enable_private_segment 0
		.amdhsa_system_sgpr_workgroup_id_x 1
		.amdhsa_system_sgpr_workgroup_id_y 1
		.amdhsa_system_sgpr_workgroup_id_z 0
		.amdhsa_system_sgpr_workgroup_info 0
		.amdhsa_system_vgpr_workitem_id 0
		.amdhsa_next_free_vgpr 144
		.amdhsa_next_free_sgpr 40
		.amdhsa_reserve_vcc 1
		.amdhsa_float_round_mode_32 0
		.amdhsa_float_round_mode_16_64 0
		.amdhsa_float_denorm_mode_32 3
		.amdhsa_float_denorm_mode_16_64 3
		.amdhsa_dx10_clamp 1
		.amdhsa_ieee_mode 1
		.amdhsa_fp16_overflow 0
		.amdhsa_workgroup_processor_mode 1
		.amdhsa_memory_ordered 1
		.amdhsa_forward_progress 0
		.amdhsa_shared_vgpr_count 0
		.amdhsa_exception_fp_ieee_invalid_op 0
		.amdhsa_exception_fp_denorm_src 0
		.amdhsa_exception_fp_ieee_div_zero 0
		.amdhsa_exception_fp_ieee_overflow 0
		.amdhsa_exception_fp_ieee_underflow 0
		.amdhsa_exception_fp_ieee_inexact 0
		.amdhsa_exception_int_div_zero 0
	.end_amdhsa_kernel
	.section	.text._Z12ssm_scan_f32ILm128ELm16ELm5EEvPKfS1_S1_S1_S1_S1_PKiPfiiiiiiiiiiilll,"axG",@progbits,_Z12ssm_scan_f32ILm128ELm16ELm5EEvPKfS1_S1_S1_S1_S1_PKiPfiiiiiiiiiiilll,comdat
.Lfunc_end6:
	.size	_Z12ssm_scan_f32ILm128ELm16ELm5EEvPKfS1_S1_S1_S1_S1_PKiPfiiiiiiiiiiilll, .Lfunc_end6-_Z12ssm_scan_f32ILm128ELm16ELm5EEvPKfS1_S1_S1_S1_S1_PKiPfiiiiiiiiiiilll
                                        ; -- End function
	.section	.AMDGPU.csdata,"",@progbits
; Kernel info:
; codeLenInByte = 15888
; NumSgprs: 42
; NumVgprs: 144
; ScratchSize: 0
; MemoryBound: 0
; FloatMode: 240
; IeeeMode: 1
; LDSByteSize: 128 bytes/workgroup (compile time only)
; SGPRBlocks: 5
; VGPRBlocks: 17
; NumSGPRsForWavesPerEU: 42
; NumVGPRsForWavesPerEU: 144
; Occupancy: 10
; WaveLimiterHint : 1
; COMPUTE_PGM_RSRC2:SCRATCH_EN: 0
; COMPUTE_PGM_RSRC2:USER_SGPR: 14
; COMPUTE_PGM_RSRC2:TRAP_HANDLER: 0
; COMPUTE_PGM_RSRC2:TGID_X_EN: 1
; COMPUTE_PGM_RSRC2:TGID_Y_EN: 1
; COMPUTE_PGM_RSRC2:TGID_Z_EN: 0
; COMPUTE_PGM_RSRC2:TIDIG_COMP_CNT: 0
	.section	.text._Z12ssm_scan_f32ILm128ELm16ELm6EEvPKfS1_S1_S1_S1_S1_PKiPfiiiiiiiiiiilll,"axG",@progbits,_Z12ssm_scan_f32ILm128ELm16ELm6EEvPKfS1_S1_S1_S1_S1_PKiPfiiiiiiiiiiilll,comdat
	.protected	_Z12ssm_scan_f32ILm128ELm16ELm6EEvPKfS1_S1_S1_S1_S1_PKiPfiiiiiiiiiiilll ; -- Begin function _Z12ssm_scan_f32ILm128ELm16ELm6EEvPKfS1_S1_S1_S1_S1_PKiPfiiiiiiiiiiilll
	.globl	_Z12ssm_scan_f32ILm128ELm16ELm6EEvPKfS1_S1_S1_S1_S1_PKiPfiiiiiiiiiiilll
	.p2align	8
	.type	_Z12ssm_scan_f32ILm128ELm16ELm6EEvPKfS1_S1_S1_S1_S1_PKiPfiiiiiiiiiiilll,@function
_Z12ssm_scan_f32ILm128ELm16ELm6EEvPKfS1_S1_S1_S1_S1_PKiPfiiiiiiiiiiilll: ; @_Z12ssm_scan_f32ILm128ELm16ELm6EEvPKfS1_S1_S1_S1_S1_PKiPfiiiiiiiiiiilll
; %bb.0:
	s_load_b512 s[16:31], s[0:1], 0x0
	s_mov_b32 s2, s15
	s_mov_b32 s15, 0
	v_dual_mov_b32 v2, 0 :: v_dual_lshlrev_b32 v55, 2, v0
	s_lshl_b64 s[4:5], s[14:15], 2
	s_load_b128 s[36:39], s[0:1], 0x60
	s_waitcnt lgkmcnt(0)
	s_add_u32 s12, s28, s4
	s_addc_u32 s13, s29, s5
	s_load_b256 s[4:11], s[0:1], 0x40
	s_load_b32 s3, s[12:13], 0x0
	s_waitcnt lgkmcnt(0)
	s_mul_i32 s3, s3, s5
	s_delay_alu instid0(SALU_CYCLE_1)
	s_ashr_i32 s12, s3, 31
	s_add_u32 s3, s16, s3
	s_addc_u32 s12, s17, s12
	s_lshl_b32 s13, s2, 7
	s_ashr_i32 s16, s4, 31
	s_lshr_b32 s17, s2, 25
	s_mul_i32 s16, s13, s16
	s_mul_hi_u32 s28, s13, s4
	s_mul_i32 s29, s17, s4
	s_add_i32 s16, s28, s16
	s_mul_i32 s28, s13, s4
	s_add_i32 s29, s16, s29
	s_add_u32 s3, s3, s28
	s_addc_u32 s12, s12, s29
	s_ashr_i32 s16, s10, 31
	s_mul_hi_u32 s33, s13, s10
	s_mul_i32 s16, s13, s16
	s_mul_i32 s17, s17, s10
	s_add_i32 s16, s33, s16
	s_mul_i32 s13, s13, s10
	s_add_i32 s16, s16, s17
	s_add_u32 s13, s22, s13
	s_addc_u32 s16, s23, s16
	s_ashr_i32 s10, s10, 2
	s_ashr_i32 s4, s4, 2
	v_mul_lo_u32 v1, s10, v0
	s_delay_alu instid0(VALU_DEP_1) | instskip(SKIP_2) | instid1(VALU_DEP_2)
	v_lshlrev_b64 v[3:4], 2, v[1:2]
	v_mul_lo_u32 v1, s4, v0
	s_mul_i32 s4, s14, s38
	v_add_co_u32 v13, vcc_lo, s13, v3
	s_delay_alu instid0(VALU_DEP_3) | instskip(NEXT) | instid1(VALU_DEP_3)
	v_add_co_ci_u32_e32 v14, vcc_lo, s16, v4, vcc_lo
	v_lshlrev_b64 v[41:42], 2, v[1:2]
	s_delay_alu instid0(VALU_DEP_1) | instskip(NEXT) | instid1(VALU_DEP_2)
	v_add_co_u32 v29, vcc_lo, s3, v41
	v_add_co_ci_u32_e32 v30, vcc_lo, s12, v42, vcc_lo
	s_clause 0x3
	global_load_b128 v[1:4], v[13:14], off offset:48
	global_load_b128 v[5:8], v[13:14], off offset:32
	;; [unrolled: 1-line block ×3, first 2 shown]
	global_load_b128 v[13:16], v[13:14], off
	s_clause 0x3
	global_load_b128 v[17:20], v[29:30], off offset:48
	global_load_b128 v[21:24], v[29:30], off offset:32
	global_load_b128 v[25:28], v[29:30], off offset:16
	global_load_b128 v[29:32], v[29:30], off
	s_mul_i32 s3, s14, s36
	v_cmp_gt_u32_e32 vcc_lo, 16, v0
	s_add_u32 s3, s24, s3
	s_addc_u32 s10, s25, 0
	s_add_u32 s4, s26, s4
	v_add_co_u32 v43, s3, s3, v55
	s_addc_u32 s12, s27, 0
	v_add_co_ci_u32_e64 v44, null, s10, 0, s3
	v_add_co_u32 v45, s3, s4, v55
	s_delay_alu instid0(VALU_DEP_1)
	v_add_co_ci_u32_e64 v46, null, s12, 0, s3
	v_add_nc_u32_e32 v0, 64, v55
	s_mov_b32 s3, s15
	s_and_saveexec_b32 s4, vcc_lo
	s_cbranch_execz .LBB7_2
; %bb.1:
	global_load_b32 v33, v[43:44], off
	global_load_b32 v34, v[45:46], off
	s_waitcnt vmcnt(1)
	ds_store_b32 v55, v33
	s_waitcnt vmcnt(0)
	ds_store_b32 v0, v34
.LBB7_2:
	s_or_b32 exec_lo, exec_lo, s4
	s_mul_i32 s4, s14, s9
	s_lshl_b64 s[12:13], s[2:3], 9
	s_add_u32 s2, s20, s4
	s_addc_u32 s3, s21, 0
	s_add_u32 s2, s2, s12
	s_addc_u32 s3, s3, s13
	s_waitcnt vmcnt(0) lgkmcnt(0)
	s_barrier
	buffer_gl0_inv
	global_load_b32 v35, v55, s[2:3]
	v_add_co_u32 v33, s2, s2, v55
	s_delay_alu instid0(VALU_DEP_1)
	v_add_co_ci_u32_e64 v34, null, s3, 0, s2
	s_mov_b32 s4, exec_lo
	s_waitcnt vmcnt(0)
	v_cmpx_ge_f32_e32 0x41a00000, v35
	s_cbranch_execz .LBB7_4
; %bb.3:
	v_mul_f32_e32 v36, 0x3fb8aa3b, v35
	v_cmp_ngt_f32_e64 s2, 0xc2ce8ed0, v35
	s_delay_alu instid0(VALU_DEP_2) | instskip(SKIP_1) | instid1(VALU_DEP_2)
	v_rndne_f32_e32 v37, v36
	v_fma_f32 v38, 0x3fb8aa3b, v35, -v36
	v_sub_f32_e32 v36, v36, v37
	s_delay_alu instid0(VALU_DEP_2) | instskip(SKIP_1) | instid1(VALU_DEP_2)
	v_fmamk_f32 v38, v35, 0x32a5705f, v38
	v_cvt_i32_f32_e32 v37, v37
	v_add_f32_e32 v36, v36, v38
	s_delay_alu instid0(VALU_DEP_1) | instskip(SKIP_2) | instid1(VALU_DEP_1)
	v_exp_f32_e32 v36, v36
	s_waitcnt_depctr 0xfff
	v_ldexp_f32 v36, v36, v37
	v_cndmask_b32_e64 v36, 0, v36, s2
	v_cmp_nlt_f32_e64 s2, 0x42b17218, v35
	s_delay_alu instid0(VALU_DEP_1) | instskip(NEXT) | instid1(VALU_DEP_1)
	v_cndmask_b32_e64 v37, 0x7f800000, v36, s2
	v_add_f32_e32 v38, 1.0, v37
	v_cmp_gt_f32_e64 s3, 0x33800000, v37
	s_delay_alu instid0(VALU_DEP_2) | instskip(NEXT) | instid1(VALU_DEP_1)
	v_cvt_f64_f32_e32 v[35:36], v38
	v_frexp_exp_i32_f64_e32 v35, v[35:36]
	v_frexp_mant_f32_e32 v36, v38
	s_delay_alu instid0(VALU_DEP_1) | instskip(SKIP_1) | instid1(VALU_DEP_1)
	v_cmp_gt_f32_e64 s2, 0x3f2aaaab, v36
	v_add_f32_e32 v36, -1.0, v38
	v_sub_f32_e32 v40, v36, v38
	v_sub_f32_e32 v36, v37, v36
	s_delay_alu instid0(VALU_DEP_2) | instskip(NEXT) | instid1(VALU_DEP_1)
	v_add_f32_e32 v40, 1.0, v40
	v_add_f32_e32 v36, v36, v40
	v_subrev_co_ci_u32_e64 v35, s2, 0, v35, s2
	s_mov_b32 s2, 0x3e9b6dac
	s_delay_alu instid0(VALU_DEP_1) | instskip(SKIP_1) | instid1(VALU_DEP_2)
	v_sub_nc_u32_e32 v39, 0, v35
	v_cvt_f32_i32_e32 v35, v35
	v_ldexp_f32 v38, v38, v39
	v_ldexp_f32 v36, v36, v39
	s_delay_alu instid0(VALU_DEP_2) | instskip(NEXT) | instid1(VALU_DEP_1)
	v_add_f32_e32 v47, 1.0, v38
	v_dual_add_f32 v39, -1.0, v38 :: v_dual_add_f32 v40, -1.0, v47
	s_delay_alu instid0(VALU_DEP_1) | instskip(NEXT) | instid1(VALU_DEP_2)
	v_add_f32_e32 v48, 1.0, v39
	v_sub_f32_e32 v40, v38, v40
	s_delay_alu instid0(VALU_DEP_2) | instskip(NEXT) | instid1(VALU_DEP_2)
	v_sub_f32_e32 v38, v38, v48
	v_add_f32_e32 v40, v36, v40
	s_delay_alu instid0(VALU_DEP_2) | instskip(NEXT) | instid1(VALU_DEP_2)
	v_add_f32_e32 v36, v36, v38
	v_add_f32_e32 v48, v47, v40
	s_delay_alu instid0(VALU_DEP_2) | instskip(NEXT) | instid1(VALU_DEP_2)
	v_add_f32_e32 v49, v39, v36
	v_rcp_f32_e32 v38, v48
	v_sub_f32_e32 v47, v47, v48
	s_delay_alu instid0(VALU_DEP_1) | instskip(NEXT) | instid1(VALU_DEP_1)
	v_dual_sub_f32 v39, v39, v49 :: v_dual_add_f32 v40, v40, v47
	v_add_f32_e32 v36, v36, v39
	s_waitcnt_depctr 0xfff
	v_mul_f32_e32 v50, v49, v38
	s_delay_alu instid0(VALU_DEP_1) | instskip(NEXT) | instid1(VALU_DEP_1)
	v_mul_f32_e32 v51, v48, v50
	v_fma_f32 v47, v50, v48, -v51
	s_delay_alu instid0(VALU_DEP_1) | instskip(NEXT) | instid1(VALU_DEP_1)
	v_fmac_f32_e32 v47, v50, v40
	v_add_f32_e32 v52, v51, v47
	s_delay_alu instid0(VALU_DEP_1) | instskip(SKIP_1) | instid1(VALU_DEP_2)
	v_sub_f32_e32 v53, v49, v52
	v_sub_f32_e32 v39, v52, v51
	;; [unrolled: 1-line block ×3, first 2 shown]
	s_delay_alu instid0(VALU_DEP_2) | instskip(NEXT) | instid1(VALU_DEP_2)
	v_sub_f32_e32 v39, v39, v47
	v_sub_f32_e32 v49, v49, v52
	s_delay_alu instid0(VALU_DEP_1) | instskip(NEXT) | instid1(VALU_DEP_1)
	v_add_f32_e32 v36, v36, v49
	v_add_f32_e32 v36, v39, v36
	s_delay_alu instid0(VALU_DEP_1) | instskip(NEXT) | instid1(VALU_DEP_1)
	v_add_f32_e32 v39, v53, v36
	v_mul_f32_e32 v47, v38, v39
	v_sub_f32_e32 v52, v53, v39
	s_delay_alu instid0(VALU_DEP_2) | instskip(NEXT) | instid1(VALU_DEP_2)
	v_mul_f32_e32 v49, v48, v47
	v_add_f32_e32 v36, v36, v52
	s_delay_alu instid0(VALU_DEP_2) | instskip(NEXT) | instid1(VALU_DEP_1)
	v_fma_f32 v48, v47, v48, -v49
	v_fmac_f32_e32 v48, v47, v40
	s_delay_alu instid0(VALU_DEP_1) | instskip(NEXT) | instid1(VALU_DEP_1)
	v_add_f32_e32 v40, v49, v48
	v_sub_f32_e32 v51, v39, v40
	v_sub_f32_e32 v49, v40, v49
	s_delay_alu instid0(VALU_DEP_2) | instskip(NEXT) | instid1(VALU_DEP_1)
	v_sub_f32_e32 v39, v39, v51
	v_sub_f32_e32 v39, v39, v40
	s_delay_alu instid0(VALU_DEP_3) | instskip(NEXT) | instid1(VALU_DEP_2)
	v_sub_f32_e32 v40, v49, v48
	v_add_f32_e32 v36, v36, v39
	s_delay_alu instid0(VALU_DEP_1) | instskip(NEXT) | instid1(VALU_DEP_1)
	v_dual_add_f32 v39, v50, v47 :: v_dual_add_f32 v36, v40, v36
	v_sub_f32_e32 v40, v39, v50
	s_delay_alu instid0(VALU_DEP_2) | instskip(NEXT) | instid1(VALU_DEP_2)
	v_add_f32_e32 v36, v51, v36
	v_sub_f32_e32 v40, v47, v40
	s_delay_alu instid0(VALU_DEP_2) | instskip(NEXT) | instid1(VALU_DEP_1)
	v_mul_f32_e32 v36, v38, v36
	v_add_f32_e32 v36, v40, v36
	s_delay_alu instid0(VALU_DEP_1) | instskip(NEXT) | instid1(VALU_DEP_1)
	v_add_f32_e32 v38, v39, v36
	v_mul_f32_e32 v40, v38, v38
	s_delay_alu instid0(VALU_DEP_1) | instskip(SKIP_2) | instid1(VALU_DEP_3)
	v_fmaak_f32 v47, s2, v40, 0x3ecc95a3
	v_mul_f32_e32 v48, v38, v40
	v_cmp_eq_f32_e64 s2, 0x7f800000, v37
	v_fmaak_f32 v40, v40, v47, 0x3f2aaada
	v_ldexp_f32 v47, v38, 1
	v_sub_f32_e32 v38, v38, v39
	s_delay_alu instid0(VALU_DEP_4) | instskip(NEXT) | instid1(VALU_DEP_3)
	s_or_b32 s2, s3, s2
	v_mul_f32_e32 v40, v48, v40
	v_mul_f32_e32 v48, 0x3f317218, v35
	s_delay_alu instid0(VALU_DEP_2) | instskip(NEXT) | instid1(VALU_DEP_1)
	v_dual_sub_f32 v36, v36, v38 :: v_dual_add_f32 v39, v47, v40
	v_ldexp_f32 v36, v36, 1
	s_delay_alu instid0(VALU_DEP_2) | instskip(NEXT) | instid1(VALU_DEP_4)
	v_sub_f32_e32 v38, v39, v47
	v_fma_f32 v47, 0x3f317218, v35, -v48
	s_delay_alu instid0(VALU_DEP_1) | instskip(NEXT) | instid1(VALU_DEP_1)
	v_dual_sub_f32 v38, v40, v38 :: v_dual_fmamk_f32 v35, v35, 0xb102e308, v47
	v_add_f32_e32 v36, v36, v38
	s_delay_alu instid0(VALU_DEP_2) | instskip(NEXT) | instid1(VALU_DEP_2)
	v_add_f32_e32 v38, v48, v35
	v_add_f32_e32 v40, v39, v36
	s_delay_alu instid0(VALU_DEP_2) | instskip(NEXT) | instid1(VALU_DEP_2)
	v_sub_f32_e32 v48, v38, v48
	v_add_f32_e32 v47, v38, v40
	v_sub_f32_e32 v39, v40, v39
	s_delay_alu instid0(VALU_DEP_3) | instskip(NEXT) | instid1(VALU_DEP_2)
	v_sub_f32_e32 v35, v35, v48
	v_dual_sub_f32 v49, v47, v38 :: v_dual_sub_f32 v36, v36, v39
	s_delay_alu instid0(VALU_DEP_1) | instskip(NEXT) | instid1(VALU_DEP_2)
	v_sub_f32_e32 v50, v47, v49
	v_dual_sub_f32 v39, v40, v49 :: v_dual_add_f32 v40, v35, v36
	s_delay_alu instid0(VALU_DEP_2) | instskip(NEXT) | instid1(VALU_DEP_1)
	v_sub_f32_e32 v38, v38, v50
	v_dual_add_f32 v38, v39, v38 :: v_dual_sub_f32 v39, v40, v35
	s_delay_alu instid0(VALU_DEP_1) | instskip(NEXT) | instid1(VALU_DEP_2)
	v_add_f32_e32 v38, v40, v38
	v_sub_f32_e32 v40, v40, v39
	v_sub_f32_e32 v36, v36, v39
	s_delay_alu instid0(VALU_DEP_3) | instskip(NEXT) | instid1(VALU_DEP_3)
	v_add_f32_e32 v48, v47, v38
	v_sub_f32_e32 v35, v35, v40
	s_delay_alu instid0(VALU_DEP_2) | instskip(NEXT) | instid1(VALU_DEP_2)
	v_sub_f32_e32 v39, v48, v47
	v_add_f32_e32 v35, v36, v35
	s_delay_alu instid0(VALU_DEP_2) | instskip(NEXT) | instid1(VALU_DEP_1)
	v_sub_f32_e32 v36, v38, v39
	v_add_f32_e32 v35, v35, v36
	s_delay_alu instid0(VALU_DEP_1) | instskip(NEXT) | instid1(VALU_DEP_1)
	v_add_f32_e32 v35, v48, v35
	v_cndmask_b32_e64 v35, v35, v37, s2
.LBB7_4:
	s_or_b32 exec_lo, exec_lo, s4
	s_load_b128 s[20:23], s[0:1], 0x70
	s_mul_i32 s0, s14, s7
	s_delay_alu instid0(VALU_DEP_1) | instskip(NEXT) | instid1(VALU_DEP_1)
	v_dual_mov_b32 v52, 0 :: v_dual_mul_f32 v39, v35, v15
	v_dual_mul_f32 v36, v35, v13 :: v_dual_mul_f32 v95, 0x3fb8aa3b, v39
	s_delay_alu instid0(VALU_DEP_1) | instskip(SKIP_1) | instid1(VALU_DEP_3)
	v_dual_mul_f32 v38, v35, v14 :: v_dual_mul_f32 v93, 0x3fb8aa3b, v36
	v_mul_f32_e32 v47, v35, v9
	v_fma_f32 v112, 0x3fb8aa3b, v39, -v95
	s_delay_alu instid0(VALU_DEP_3) | instskip(NEXT) | instid1(VALU_DEP_3)
	v_mul_f32_e32 v94, 0x3fb8aa3b, v38
	v_dual_mul_f32 v40, v35, v16 :: v_dual_mul_f32 v97, 0x3fb8aa3b, v47
	v_mul_f32_e32 v49, v35, v11
	v_rndne_f32_e32 v109, v93
	v_mul_f32_e32 v92, v35, v4
	s_waitcnt lgkmcnt(0)
	s_mul_i32 s1, s14, s23
	s_mul_hi_u32 s2, s14, s22
	s_mul_i32 s3, s14, s22
	s_add_i32 s1, s2, s1
	s_mul_hi_u32 s2, s3, 24
	s_mul_i32 s1, s1, 24
	s_mul_i32 s3, s3, 24
	s_add_i32 s2, s2, s1
	s_add_u32 s1, s30, s3
	s_addc_u32 s3, s31, s2
	s_ashr_i32 s2, s11, 2
	s_add_u32 s0, s18, s0
	s_addc_u32 s4, s19, 0
	s_add_u32 s16, s0, s12
	s_addc_u32 s17, s4, s13
	v_mul_f32_e32 v96, 0x3fb8aa3b, v40
	global_load_b32 v37, v55, s[16:17]
	v_dual_mul_f32 v48, v35, v10 :: v_dual_mul_f32 v99, 0x3fb8aa3b, v49
	v_mul_f32_e32 v51, v35, v5
	ds_load_b128 v[56:59], v52
	ds_load_b128 v[60:63], v52 offset:16
	ds_load_b128 v[64:67], v52 offset:32
	;; [unrolled: 1-line block ×7, first 2 shown]
	v_fma_f32 v52, 0x3fb8aa3b, v36, -v93
	v_mul_f32_e32 v98, 0x3fb8aa3b, v48
	v_dual_mul_f32 v50, v35, v12 :: v_dual_mul_f32 v101, 0x3fb8aa3b, v51
	v_mul_f32_e32 v89, v35, v1
	v_fma_f32 v110, 0x3fb8aa3b, v38, -v94
	v_rndne_f32_e32 v111, v94
	s_delay_alu instid0(VALU_DEP_4) | instskip(NEXT) | instid1(VALU_DEP_4)
	v_mul_f32_e32 v100, 0x3fb8aa3b, v50
	v_dual_mul_f32 v54, v35, v7 :: v_dual_mul_f32 v105, 0x3fb8aa3b, v89
	v_mul_f32_e32 v88, v35, v8
	v_rndne_f32_e32 v121, v99
	v_fmac_f32_e32 v52, 0x32a5705f, v36
	s_delay_alu instid0(VALU_DEP_4) | instskip(NEXT) | instid1(VALU_DEP_4)
	v_mul_f32_e32 v103, 0x3fb8aa3b, v54
	v_dual_mul_f32 v53, v35, v6 :: v_dual_mul_f32 v104, 0x3fb8aa3b, v88
	v_sub_f32_e32 v93, v93, v109
	v_mul_f32_e32 v91, v35, v3
	v_rndne_f32_e32 v113, v95
	s_delay_alu instid0(VALU_DEP_4)
	v_mul_f32_e32 v102, 0x3fb8aa3b, v53
	v_mul_f32_e32 v90, v35, v2
	v_rndne_f32_e32 v115, v96
	v_mul_f32_e32 v107, 0x3fb8aa3b, v91
	v_fma_f32 v120, 0x3fb8aa3b, v49, -v99
	v_rndne_f32_e32 v125, v101
	v_rndne_f32_e32 v129, v103
	v_fmac_f32_e32 v110, 0x32a5705f, v38
	v_dual_sub_f32 v94, v94, v111 :: v_dual_sub_f32 v99, v99, v121
	v_add_f32_e32 v52, v93, v52
	v_dual_mul_f32 v106, 0x3fb8aa3b, v90 :: v_dual_sub_f32 v95, v95, v113
	v_fma_f32 v114, 0x3fb8aa3b, v40, -v96
	v_fma_f32 v124, 0x3fb8aa3b, v51, -v101
	v_fma_f32 v128, 0x3fb8aa3b, v54, -v103
	v_rndne_f32_e32 v133, v105
	v_dual_fmac_f32 v112, 0x32a5705f, v39 :: v_dual_sub_f32 v101, v101, v125
	v_dual_sub_f32 v103, v103, v129 :: v_dual_sub_f32 v96, v96, v115
	v_add_f32_e32 v93, v94, v110
	v_exp_f32_e32 v52, v52
	v_fma_f32 v116, 0x3fb8aa3b, v47, -v97
	v_rndne_f32_e32 v117, v97
	v_mul_f32_e32 v108, 0x3fb8aa3b, v92
	v_fma_f32 v132, 0x3fb8aa3b, v89, -v105
	v_rndne_f32_e32 v137, v107
	v_dual_fmac_f32 v114, 0x32a5705f, v40 :: v_dual_sub_f32 v105, v105, v133
	v_cvt_i32_f32_e32 v109, v109
	v_add_f32_e32 v94, v95, v112
	v_exp_f32_e32 v93, v93
	v_fma_f32 v118, 0x3fb8aa3b, v48, -v98
	v_rndne_f32_e32 v119, v98
	v_fma_f32 v122, 0x3fb8aa3b, v50, -v100
	v_rndne_f32_e32 v123, v100
	;; [unrolled: 2-line block ×4, first 2 shown]
	v_fma_f32 v136, 0x3fb8aa3b, v91, -v107
	v_sub_f32_e32 v97, v97, v117
	v_fma_f32 v138, 0x3fb8aa3b, v92, -v108
	v_rndne_f32_e32 v139, v108
	v_dual_sub_f32 v107, v107, v137 :: v_dual_fmac_f32 v116, 0x32a5705f, v47
	v_add_f32_e32 v95, v96, v114
	v_cvt_i32_f32_e32 v111, v111
	v_exp_f32_e32 v94, v94
	v_ldexp_f32 v52, v52, v109
	v_cmp_ngt_f32_e64 s0, 0xc2ce8ed0, v36
	v_fmac_f32_e32 v122, 0x32a5705f, v50
	v_sub_f32_e32 v102, v102, v127
	v_fmac_f32_e32 v130, 0x32a5705f, v88
	v_sub_f32_e32 v104, v104, v131
	v_sub_f32_e32 v98, v98, v119
	v_fmac_f32_e32 v138, 0x32a5705f, v92
	v_sub_f32_e32 v108, v108, v139
	v_fmac_f32_e32 v126, 0x32a5705f, v53
	v_sub_f32_e32 v100, v100, v123
	v_fmac_f32_e32 v118, 0x32a5705f, v48
	v_cvt_i32_f32_e32 v113, v113
	v_add_f32_e32 v96, v97, v116
	v_exp_f32_e32 v95, v95
	v_ldexp_f32 v93, v93, v111
	v_cndmask_b32_e64 v52, 0, v52, s0
	v_cmp_ngt_f32_e64 s0, 0xc2ce8ed0, v38
	v_dual_fmac_f32 v120, 0x32a5705f, v49 :: v_dual_add_f32 v97, v98, v118
	v_cvt_i32_f32_e32 v115, v115
	v_exp_f32_e32 v96, v96
	v_ldexp_f32 v94, v94, v113
	v_cndmask_b32_e64 v93, 0, v93, s0
	v_cmp_ngt_f32_e64 s0, 0xc2ce8ed0, v39
	v_fma_f32 v134, 0x3fb8aa3b, v90, -v106
	v_rndne_f32_e32 v135, v106
	v_cvt_i32_f32_e32 v117, v117
	v_add_f32_e32 v98, v99, v120
	v_exp_f32_e32 v97, v97
	v_ldexp_f32 v95, v95, v115
	v_cndmask_b32_e64 v94, 0, v94, s0
	v_cmp_ngt_f32_e64 s0, 0xc2ce8ed0, v40
	v_fmac_f32_e32 v134, 0x32a5705f, v90
	v_sub_f32_e32 v106, v106, v135
	v_fmac_f32_e32 v124, 0x32a5705f, v51
	v_cvt_i32_f32_e32 v119, v119
	v_add_f32_e32 v99, v100, v122
	v_exp_f32_e32 v98, v98
	v_ldexp_f32 v96, v96, v117
	v_cndmask_b32_e64 v95, 0, v95, s0
	v_cmp_ngt_f32_e64 s0, 0xc2ce8ed0, v47
	v_cvt_i32_f32_e32 v121, v121
	v_add_f32_e32 v100, v101, v124
	v_exp_f32_e32 v99, v99
	v_ldexp_f32 v97, v97, v119
	v_cndmask_b32_e64 v96, 0, v96, s0
	v_cmp_ngt_f32_e64 s0, 0xc2ce8ed0, v48
	v_fmac_f32_e32 v128, 0x32a5705f, v54
	v_cvt_i32_f32_e32 v123, v123
	v_add_f32_e32 v101, v102, v126
	v_exp_f32_e32 v100, v100
	v_ldexp_f32 v98, v98, v121
	v_cndmask_b32_e64 v97, 0, v97, s0
	v_cmp_ngt_f32_e64 s0, 0xc2ce8ed0, v49
	v_cvt_i32_f32_e32 v125, v125
	v_add_f32_e32 v102, v103, v128
	v_exp_f32_e32 v101, v101
	v_ldexp_f32 v99, v99, v123
	v_cndmask_b32_e64 v98, 0, v98, s0
	v_cmp_ngt_f32_e64 s0, 0xc2ce8ed0, v50
	;; [unrolled: 13-line block ×4, first 2 shown]
	v_cvt_i32_f32_e32 v135, v135
	v_exp_f32_e32 v106, v106
	v_ldexp_f32 v104, v104, v133
	v_cvt_i32_f32_e32 v137, v137
	v_cndmask_b32_e64 v103, 0, v103, s0
	v_cmp_ngt_f32_e64 s0, 0xc2ce8ed0, v89
	v_add_f32_e32 v107, v108, v138
	v_ldexp_f32 v105, v105, v135
	v_cvt_i32_f32_e32 v139, v139
	s_delay_alu instid0(VALU_DEP_4) | instskip(SKIP_3) | instid1(VALU_DEP_2)
	v_cndmask_b32_e64 v104, 0, v104, s0
	v_cmp_ngt_f32_e64 s0, 0xc2ce8ed0, v90
	v_exp_f32_e32 v107, v107
	v_ldexp_f32 v106, v106, v137
	v_cndmask_b32_e64 v105, 0, v105, s0
	v_cmp_ngt_f32_e64 s0, 0xc2ce8ed0, v91
	s_waitcnt_depctr 0xfff
	v_ldexp_f32 v107, v107, v139
	s_waitcnt vmcnt(0)
	v_mul_f32_e32 v108, v35, v37
	v_cndmask_b32_e64 v37, 0, v106, s0
	v_cmp_nlt_f32_e64 s0, 0x42b17218, v36
	s_waitcnt lgkmcnt(7)
	s_delay_alu instid0(VALU_DEP_3) | instskip(NEXT) | instid1(VALU_DEP_2)
	v_mul_f32_e32 v35, v108, v56
	v_cndmask_b32_e64 v36, 0x7f800000, v52, s0
	v_cmp_ngt_f32_e64 s0, 0xc2ce8ed0, v92
	s_delay_alu instid0(VALU_DEP_2) | instskip(NEXT) | instid1(VALU_DEP_2)
	v_fmac_f32_e32 v35, v29, v36
	v_cndmask_b32_e64 v52, 0, v107, s0
	v_cmp_nlt_f32_e64 s0, 0x42b17218, v38
	v_mul_f32_e32 v38, v108, v57
	v_mul_f32_e32 v29, v108, v58
	s_delay_alu instid0(VALU_DEP_3) | instskip(SKIP_3) | instid1(VALU_DEP_3)
	v_cndmask_b32_e64 v56, 0x7f800000, v93, s0
	v_cmp_nlt_f32_e64 s0, 0x42b17218, v39
	s_waitcnt lgkmcnt(3)
	v_fma_f32 v39, v72, v35, 0
	v_fmac_f32_e32 v38, v30, v56
	s_delay_alu instid0(VALU_DEP_3) | instskip(SKIP_1) | instid1(VALU_DEP_3)
	v_cndmask_b32_e64 v36, 0x7f800000, v94, s0
	v_cmp_nlt_f32_e64 s0, 0x42b17218, v40
	v_dual_mul_f32 v30, v108, v59 :: v_dual_fmac_f32 v39, v73, v38
	s_delay_alu instid0(VALU_DEP_3) | instskip(NEXT) | instid1(VALU_DEP_3)
	v_fmac_f32_e32 v29, v31, v36
	v_cndmask_b32_e64 v40, 0x7f800000, v95, s0
	v_cmp_nlt_f32_e64 s0, 0x42b17218, v47
	v_mul_f32_e32 v31, v108, v60
	s_delay_alu instid0(VALU_DEP_3) | instskip(NEXT) | instid1(VALU_DEP_3)
	v_dual_fmac_f32 v39, v74, v29 :: v_dual_fmac_f32 v30, v32, v40
	v_cndmask_b32_e64 v36, 0x7f800000, v96, s0
	v_cmp_nlt_f32_e64 s0, 0x42b17218, v48
	s_delay_alu instid0(VALU_DEP_3) | instskip(NEXT) | instid1(VALU_DEP_3)
	v_dual_mul_f32 v32, v108, v61 :: v_dual_fmac_f32 v39, v75, v30
	v_fmac_f32_e32 v31, v25, v36
	s_delay_alu instid0(VALU_DEP_3) | instskip(SKIP_2) | instid1(VALU_DEP_2)
	v_cndmask_b32_e64 v40, 0x7f800000, v97, s0
	v_cmp_nlt_f32_e64 s0, 0x42b17218, v49
	s_waitcnt lgkmcnt(2)
	v_dual_fmac_f32 v39, v76, v31 :: v_dual_fmac_f32 v32, v26, v40
	s_delay_alu instid0(VALU_DEP_2) | instskip(SKIP_1) | instid1(VALU_DEP_3)
	v_cndmask_b32_e64 v36, 0x7f800000, v98, s0
	v_cmp_nlt_f32_e64 s0, 0x42b17218, v50
	v_fmac_f32_e32 v39, v77, v32
	v_mul_f32_e32 v25, v108, v62
	s_delay_alu instid0(VALU_DEP_3) | instskip(SKIP_2) | instid1(VALU_DEP_4)
	v_cndmask_b32_e64 v40, 0x7f800000, v99, s0
	v_mul_f32_e32 v26, v108, v63
	v_cmp_nlt_f32_e64 s0, 0x42b17218, v51
	v_fmac_f32_e32 v25, v27, v36
	v_mul_f32_e32 v27, v108, v64
	s_delay_alu instid0(VALU_DEP_4) | instskip(NEXT) | instid1(VALU_DEP_4)
	v_fmac_f32_e32 v26, v28, v40
	v_cndmask_b32_e64 v36, 0x7f800000, v100, s0
	v_cmp_nlt_f32_e64 s0, 0x42b17218, v53
	v_fmac_f32_e32 v39, v78, v25
	s_delay_alu instid0(VALU_DEP_3) | instskip(NEXT) | instid1(VALU_DEP_3)
	v_dual_mul_f32 v28, v108, v65 :: v_dual_fmac_f32 v27, v21, v36
	v_cndmask_b32_e64 v40, 0x7f800000, v101, s0
	s_delay_alu instid0(VALU_DEP_3) | instskip(SKIP_3) | instid1(VALU_DEP_3)
	v_fmac_f32_e32 v39, v79, v26
	v_cmp_nlt_f32_e64 s0, 0x42b17218, v54
	v_mul_f32_e32 v36, v108, v66
	s_waitcnt lgkmcnt(1)
	v_dual_fmac_f32 v28, v22, v40 :: v_dual_fmac_f32 v39, v80, v27
	s_delay_alu instid0(VALU_DEP_3) | instskip(SKIP_1) | instid1(VALU_DEP_3)
	v_cndmask_b32_e64 v21, 0x7f800000, v102, s0
	v_cmp_nlt_f32_e64 s0, 0x42b17218, v88
	v_dual_mul_f32 v22, v108, v67 :: v_dual_fmac_f32 v39, v81, v28
	s_delay_alu instid0(VALU_DEP_3) | instskip(NEXT) | instid1(VALU_DEP_3)
	v_fmac_f32_e32 v36, v23, v21
	v_cndmask_b32_e64 v40, 0x7f800000, v103, s0
	v_cmp_nlt_f32_e64 s0, 0x42b17218, v89
	v_mul_f32_e32 v23, v108, v68
	s_delay_alu instid0(VALU_DEP_4) | instskip(NEXT) | instid1(VALU_DEP_4)
	v_fmac_f32_e32 v39, v82, v36
	v_fmac_f32_e32 v22, v24, v40
	s_delay_alu instid0(VALU_DEP_4) | instskip(SKIP_1) | instid1(VALU_DEP_3)
	v_cndmask_b32_e64 v21, 0x7f800000, v104, s0
	v_cmp_nlt_f32_e64 s0, 0x42b17218, v90
	v_dual_mul_f32 v24, v108, v69 :: v_dual_fmac_f32 v39, v83, v22
	s_delay_alu instid0(VALU_DEP_3) | instskip(NEXT) | instid1(VALU_DEP_3)
	v_fmac_f32_e32 v23, v17, v21
	v_cndmask_b32_e64 v40, 0x7f800000, v105, s0
	v_cmp_nlt_f32_e64 s0, 0x42b17218, v91
	v_mul_f32_e32 v21, v108, v71
	s_waitcnt lgkmcnt(0)
	s_delay_alu instid0(VALU_DEP_3) | instskip(NEXT) | instid1(VALU_DEP_3)
	v_dual_fmac_f32 v39, v84, v23 :: v_dual_fmac_f32 v24, v18, v40
	v_cndmask_b32_e64 v17, 0x7f800000, v37, s0
	v_mul_f32_e32 v37, v108, v70
	v_cmp_nlt_f32_e64 s0, 0x42b17218, v92
	s_delay_alu instid0(VALU_DEP_4) | instskip(NEXT) | instid1(VALU_DEP_3)
	v_fmac_f32_e32 v39, v85, v24
	v_fmac_f32_e32 v37, v19, v17
	s_delay_alu instid0(VALU_DEP_3) | instskip(SKIP_3) | instid1(VALU_DEP_2)
	v_cndmask_b32_e64 v18, 0x7f800000, v52, s0
	s_add_u32 s0, s1, s12
	s_addc_u32 s1, s3, s13
	v_add_co_u32 v49, s3, s16, v55
	v_fmac_f32_e32 v21, v20, v18
	v_fmac_f32_e32 v39, v86, v37
	v_add_co_u32 v47, s4, s0, v55
	v_add_co_ci_u32_e64 v50, null, s17, 0, s3
	s_delay_alu instid0(VALU_DEP_3)
	v_fmac_f32_e32 v39, v87, v21
	v_add_co_ci_u32_e64 v48, null, s1, 0, s4
	s_ashr_i32 s10, s37, 2
	s_ashr_i32 s3, s2, 31
	;; [unrolled: 1-line block ×3, first 2 shown]
	global_store_b32 v55, v39, s[0:1]
	s_waitcnt_vscnt null, 0x0
	s_barrier
	buffer_gl0_inv
	s_and_saveexec_b32 s1, vcc_lo
	s_cbranch_execz .LBB7_6
; %bb.5:
	s_lshl_b64 s[12:13], s[2:3], 2
	s_delay_alu instid0(SALU_CYCLE_1) | instskip(NEXT) | instid1(VALU_DEP_1)
	v_add_co_u32 v17, s0, v43, s12
	v_add_co_ci_u32_e64 v18, s0, s13, v44, s0
	s_lshl_b64 s[12:13], s[10:11], 2
	s_delay_alu instid0(SALU_CYCLE_1) | instskip(NEXT) | instid1(VALU_DEP_1)
	v_add_co_u32 v19, s0, v45, s12
	v_add_co_ci_u32_e64 v20, s0, s13, v46, s0
	global_load_b32 v17, v[17:18], off
	global_load_b32 v18, v[19:20], off
	s_waitcnt vmcnt(1)
	ds_store_b32 v55, v17
	s_waitcnt vmcnt(0)
	ds_store_b32 v0, v18
.LBB7_6:
	s_or_b32 exec_lo, exec_lo, s1
	s_ashr_i32 s0, s8, 2
	s_waitcnt lgkmcnt(0)
	s_ashr_i32 s1, s0, 31
	s_barrier
	s_lshl_b64 s[8:9], s[0:1], 2
	buffer_gl0_inv
	v_add_co_u32 v17, s0, v33, s8
	s_delay_alu instid0(VALU_DEP_1)
	v_add_co_ci_u32_e64 v18, s0, s9, v34, s0
	s_mov_b32 s4, exec_lo
	global_load_b32 v33, v[17:18], off
	s_waitcnt vmcnt(0)
	v_cmpx_ge_f32_e32 0x41a00000, v33
	s_cbranch_execz .LBB7_8
; %bb.7:
	v_mul_f32_e32 v19, 0x3fb8aa3b, v33
	v_cmp_ngt_f32_e64 s0, 0xc2ce8ed0, v33
	s_delay_alu instid0(VALU_DEP_2) | instskip(SKIP_1) | instid1(VALU_DEP_1)
	v_rndne_f32_e32 v20, v19
	v_fma_f32 v34, 0x3fb8aa3b, v33, -v19
	v_dual_sub_f32 v19, v19, v20 :: v_dual_fmamk_f32 v34, v33, 0x32a5705f, v34
	v_cvt_i32_f32_e32 v20, v20
	s_delay_alu instid0(VALU_DEP_2) | instskip(NEXT) | instid1(VALU_DEP_1)
	v_add_f32_e32 v19, v19, v34
	v_exp_f32_e32 v19, v19
	s_waitcnt_depctr 0xfff
	v_ldexp_f32 v19, v19, v20
	s_delay_alu instid0(VALU_DEP_1) | instskip(SKIP_1) | instid1(VALU_DEP_1)
	v_cndmask_b32_e64 v19, 0, v19, s0
	v_cmp_nlt_f32_e64 s0, 0x42b17218, v33
	v_cndmask_b32_e64 v33, 0x7f800000, v19, s0
	s_delay_alu instid0(VALU_DEP_1) | instskip(SKIP_1) | instid1(VALU_DEP_2)
	v_add_f32_e32 v34, 1.0, v33
	v_cmp_gt_f32_e64 s1, 0x33800000, v33
	v_cvt_f64_f32_e32 v[19:20], v34
	s_delay_alu instid0(VALU_DEP_1) | instskip(SKIP_1) | instid1(VALU_DEP_1)
	v_frexp_exp_i32_f64_e32 v19, v[19:20]
	v_frexp_mant_f32_e32 v20, v34
	v_cmp_gt_f32_e64 s0, 0x3f2aaaab, v20
	v_add_f32_e32 v20, -1.0, v34
	s_delay_alu instid0(VALU_DEP_1) | instskip(NEXT) | instid1(VALU_DEP_3)
	v_sub_f32_e32 v40, v20, v34
	v_subrev_co_ci_u32_e64 v19, s0, 0, v19, s0
	s_mov_b32 s0, 0x3e9b6dac
	s_delay_alu instid0(VALU_DEP_1) | instskip(SKIP_1) | instid1(VALU_DEP_2)
	v_sub_nc_u32_e32 v39, 0, v19
	v_cvt_f32_i32_e32 v19, v19
	v_ldexp_f32 v34, v34, v39
	v_sub_f32_e32 v20, v33, v20
	s_delay_alu instid0(VALU_DEP_2) | instskip(NEXT) | instid1(VALU_DEP_1)
	v_dual_add_f32 v40, 1.0, v40 :: v_dual_add_f32 v51, 1.0, v34
	v_add_f32_e32 v20, v20, v40
	s_delay_alu instid0(VALU_DEP_2) | instskip(NEXT) | instid1(VALU_DEP_2)
	v_add_f32_e32 v40, -1.0, v51
	v_ldexp_f32 v20, v20, v39
	s_delay_alu instid0(VALU_DEP_2) | instskip(NEXT) | instid1(VALU_DEP_1)
	v_dual_add_f32 v39, -1.0, v34 :: v_dual_sub_f32 v40, v34, v40
	v_add_f32_e32 v52, 1.0, v39
	s_delay_alu instid0(VALU_DEP_2) | instskip(NEXT) | instid1(VALU_DEP_2)
	v_add_f32_e32 v40, v20, v40
	v_sub_f32_e32 v34, v34, v52
	s_delay_alu instid0(VALU_DEP_2) | instskip(NEXT) | instid1(VALU_DEP_2)
	v_add_f32_e32 v52, v51, v40
	v_add_f32_e32 v20, v20, v34
	s_delay_alu instid0(VALU_DEP_2) | instskip(SKIP_1) | instid1(VALU_DEP_1)
	v_rcp_f32_e32 v34, v52
	v_sub_f32_e32 v51, v51, v52
	v_dual_add_f32 v53, v39, v20 :: v_dual_add_f32 v40, v40, v51
	s_waitcnt_depctr 0xfff
	v_dual_sub_f32 v39, v39, v53 :: v_dual_mul_f32 v54, v53, v34
	s_delay_alu instid0(VALU_DEP_1) | instskip(NEXT) | instid1(VALU_DEP_2)
	v_add_f32_e32 v20, v20, v39
	v_mul_f32_e32 v56, v52, v54
	s_delay_alu instid0(VALU_DEP_1) | instskip(NEXT) | instid1(VALU_DEP_1)
	v_fma_f32 v51, v54, v52, -v56
	v_fmac_f32_e32 v51, v54, v40
	s_delay_alu instid0(VALU_DEP_1) | instskip(NEXT) | instid1(VALU_DEP_1)
	v_add_f32_e32 v57, v56, v51
	v_sub_f32_e32 v58, v53, v57
	v_sub_f32_e32 v39, v57, v56
	s_delay_alu instid0(VALU_DEP_2) | instskip(NEXT) | instid1(VALU_DEP_2)
	v_sub_f32_e32 v53, v53, v58
	v_sub_f32_e32 v39, v39, v51
	s_delay_alu instid0(VALU_DEP_2) | instskip(NEXT) | instid1(VALU_DEP_1)
	v_sub_f32_e32 v53, v53, v57
	v_add_f32_e32 v20, v20, v53
	s_delay_alu instid0(VALU_DEP_1) | instskip(NEXT) | instid1(VALU_DEP_1)
	v_add_f32_e32 v20, v39, v20
	v_add_f32_e32 v39, v58, v20
	s_delay_alu instid0(VALU_DEP_1) | instskip(NEXT) | instid1(VALU_DEP_1)
	v_mul_f32_e32 v51, v34, v39
	v_mul_f32_e32 v53, v52, v51
	v_sub_f32_e32 v57, v58, v39
	s_delay_alu instid0(VALU_DEP_2) | instskip(NEXT) | instid1(VALU_DEP_1)
	v_fma_f32 v52, v51, v52, -v53
	v_fmac_f32_e32 v52, v51, v40
	s_delay_alu instid0(VALU_DEP_1) | instskip(NEXT) | instid1(VALU_DEP_1)
	v_add_f32_e32 v40, v53, v52
	v_dual_sub_f32 v56, v39, v40 :: v_dual_sub_f32 v53, v40, v53
	s_delay_alu instid0(VALU_DEP_1) | instskip(NEXT) | instid1(VALU_DEP_1)
	v_dual_add_f32 v20, v20, v57 :: v_dual_sub_f32 v39, v39, v56
	v_sub_f32_e32 v39, v39, v40
	s_delay_alu instid0(VALU_DEP_1) | instskip(NEXT) | instid1(VALU_DEP_4)
	v_add_f32_e32 v20, v20, v39
	v_dual_add_f32 v39, v54, v51 :: v_dual_sub_f32 v40, v53, v52
	s_delay_alu instid0(VALU_DEP_1) | instskip(NEXT) | instid1(VALU_DEP_2)
	v_add_f32_e32 v20, v40, v20
	v_sub_f32_e32 v40, v39, v54
	s_delay_alu instid0(VALU_DEP_2) | instskip(NEXT) | instid1(VALU_DEP_2)
	v_add_f32_e32 v20, v56, v20
	v_sub_f32_e32 v40, v51, v40
	s_delay_alu instid0(VALU_DEP_2) | instskip(NEXT) | instid1(VALU_DEP_1)
	v_mul_f32_e32 v20, v34, v20
	v_add_f32_e32 v20, v40, v20
	s_delay_alu instid0(VALU_DEP_1) | instskip(NEXT) | instid1(VALU_DEP_1)
	v_add_f32_e32 v34, v39, v20
	v_mul_f32_e32 v40, v34, v34
	s_delay_alu instid0(VALU_DEP_1) | instskip(SKIP_2) | instid1(VALU_DEP_3)
	v_fmaak_f32 v51, s0, v40, 0x3ecc95a3
	v_mul_f32_e32 v52, v34, v40
	v_cmp_eq_f32_e64 s0, 0x7f800000, v33
	v_fmaak_f32 v40, v40, v51, 0x3f2aaada
	v_ldexp_f32 v51, v34, 1
	v_sub_f32_e32 v34, v34, v39
	s_delay_alu instid0(VALU_DEP_4) | instskip(NEXT) | instid1(VALU_DEP_3)
	s_or_b32 s0, s1, s0
	v_mul_f32_e32 v40, v52, v40
	s_delay_alu instid0(VALU_DEP_1) | instskip(NEXT) | instid1(VALU_DEP_1)
	v_dual_sub_f32 v20, v20, v34 :: v_dual_add_f32 v39, v51, v40
	v_ldexp_f32 v20, v20, 1
	s_delay_alu instid0(VALU_DEP_2) | instskip(NEXT) | instid1(VALU_DEP_1)
	v_sub_f32_e32 v34, v39, v51
	v_sub_f32_e32 v34, v40, v34
	s_delay_alu instid0(VALU_DEP_1) | instskip(NEXT) | instid1(VALU_DEP_1)
	v_add_f32_e32 v20, v20, v34
	v_add_f32_e32 v40, v39, v20
	v_mul_f32_e32 v52, 0x3f317218, v19
	s_delay_alu instid0(VALU_DEP_2) | instskip(NEXT) | instid1(VALU_DEP_2)
	v_sub_f32_e32 v39, v40, v39
	v_fma_f32 v51, 0x3f317218, v19, -v52
	s_delay_alu instid0(VALU_DEP_1) | instskip(NEXT) | instid1(VALU_DEP_1)
	v_dual_sub_f32 v20, v20, v39 :: v_dual_fmamk_f32 v19, v19, 0xb102e308, v51
	v_add_f32_e32 v34, v52, v19
	s_delay_alu instid0(VALU_DEP_1) | instskip(NEXT) | instid1(VALU_DEP_1)
	v_add_f32_e32 v51, v34, v40
	v_dual_sub_f32 v52, v34, v52 :: v_dual_sub_f32 v53, v51, v34
	s_delay_alu instid0(VALU_DEP_1) | instskip(NEXT) | instid1(VALU_DEP_2)
	v_sub_f32_e32 v19, v19, v52
	v_sub_f32_e32 v54, v51, v53
	s_delay_alu instid0(VALU_DEP_2) | instskip(NEXT) | instid1(VALU_DEP_2)
	v_dual_sub_f32 v39, v40, v53 :: v_dual_add_f32 v40, v19, v20
	v_sub_f32_e32 v34, v34, v54
	s_delay_alu instid0(VALU_DEP_1) | instskip(NEXT) | instid1(VALU_DEP_1)
	v_dual_add_f32 v34, v39, v34 :: v_dual_sub_f32 v39, v40, v19
	v_add_f32_e32 v34, v40, v34
	s_delay_alu instid0(VALU_DEP_2) | instskip(SKIP_1) | instid1(VALU_DEP_3)
	v_sub_f32_e32 v40, v40, v39
	v_sub_f32_e32 v20, v20, v39
	v_add_f32_e32 v52, v51, v34
	s_delay_alu instid0(VALU_DEP_3) | instskip(NEXT) | instid1(VALU_DEP_2)
	v_sub_f32_e32 v19, v19, v40
	v_sub_f32_e32 v39, v52, v51
	s_delay_alu instid0(VALU_DEP_2) | instskip(NEXT) | instid1(VALU_DEP_2)
	v_add_f32_e32 v19, v20, v19
	v_sub_f32_e32 v20, v34, v39
	s_delay_alu instid0(VALU_DEP_1) | instskip(NEXT) | instid1(VALU_DEP_1)
	v_add_f32_e32 v19, v19, v20
	v_add_f32_e32 v19, v52, v19
	s_delay_alu instid0(VALU_DEP_1)
	v_cndmask_b32_e64 v33, v19, v33, s0
.LBB7_8:
	s_or_b32 exec_lo, exec_lo, s4
	s_ashr_i32 s6, s6, 2
	s_delay_alu instid0(VALU_DEP_1)
	v_dual_mov_b32 v54, 0 :: v_dual_mul_f32 v51, v33, v15
	s_ashr_i32 s7, s6, 31
	v_mul_f32_e32 v34, v33, v13
	s_lshl_b64 s[16:17], s[6:7], 2
	v_mul_f32_e32 v53, v33, v9
	v_add_co_u32 v19, s0, v49, s16
	s_delay_alu instid0(VALU_DEP_1) | instskip(NEXT) | instid1(VALU_DEP_3)
	v_add_co_ci_u32_e64 v20, s0, s17, v50, s0
	v_dual_mul_f32 v40, v33, v14 :: v_dual_mul_f32 v103, 0x3fb8aa3b, v53
	v_mul_f32_e32 v101, 0x3fb8aa3b, v51
	global_load_b32 v39, v[19:20], off
	v_dual_mul_f32 v52, v33, v16 :: v_dual_mul_f32 v71, 0x3fb8aa3b, v34
	v_dual_mul_f32 v69, v33, v11 :: v_dual_mul_f32 v100, 0x3fb8aa3b, v40
	ds_load_b128 v[57:60], v54
	ds_load_b128 v[61:64], v54 offset:16
	ds_load_b128 v[65:68], v54 offset:32
	;; [unrolled: 1-line block ×3, first 2 shown]
	v_mul_f32_e32 v102, 0x3fb8aa3b, v52
	v_dual_mul_f32 v56, v33, v10 :: v_dual_mul_f32 v105, 0x3fb8aa3b, v69
	v_mul_f32_e32 v93, v33, v6
	ds_load_b128 v[76:79], v54 offset:64
	ds_load_b128 v[80:83], v54 offset:80
	;; [unrolled: 1-line block ×4, first 2 shown]
	v_dual_mul_f32 v104, 0x3fb8aa3b, v56 :: v_dual_mul_f32 v97, v33, v2
	v_mul_f32_e32 v108, 0x3fb8aa3b, v93
	v_fma_f32 v54, 0x3fb8aa3b, v34, -v71
	v_rndne_f32_e32 v115, v71
	v_fma_f32 v116, 0x3fb8aa3b, v40, -v100
	v_rndne_f32_e32 v117, v100
	v_mul_f32_e32 v112, 0x3fb8aa3b, v97
	v_rndne_f32_e32 v119, v101
	v_sub_f32_e32 v71, v71, v115
	v_rndne_f32_e32 v123, v103
	v_rndne_f32_e32 v127, v105
	v_fmac_f32_e32 v54, 0x32a5705f, v34
	v_fmac_f32_e32 v116, 0x32a5705f, v40
	v_sub_f32_e32 v100, v100, v117
	v_fma_f32 v118, 0x3fb8aa3b, v51, -v101
	v_fma_f32 v122, 0x3fb8aa3b, v53, -v103
	;; [unrolled: 1-line block ×3, first 2 shown]
	v_sub_f32_e32 v105, v105, v127
	v_sub_f32_e32 v101, v101, v119
	;; [unrolled: 1-line block ×3, first 2 shown]
	v_mul_f32_e32 v98, v33, v3
	v_dual_add_f32 v54, v71, v54 :: v_dual_add_f32 v71, v100, v116
	v_mul_f32_e32 v96, v33, v1
	v_fma_f32 v124, 0x3fb8aa3b, v56, -v104
	s_delay_alu instid0(VALU_DEP_4) | instskip(SKIP_1) | instid1(VALU_DEP_4)
	v_dual_mul_f32 v113, 0x3fb8aa3b, v98 :: v_dual_mul_f32 v92, v33, v5
	v_rndne_f32_e32 v125, v104
	v_dual_mul_f32 v111, 0x3fb8aa3b, v96 :: v_dual_mul_f32 v94, v33, v7
	v_fma_f32 v140, 0x3fb8aa3b, v97, -v112
	s_delay_alu instid0(VALU_DEP_4)
	v_mul_f32_e32 v107, 0x3fb8aa3b, v92
	v_mul_f32_e32 v70, v33, v12
	v_rndne_f32_e32 v141, v112
	v_mul_f32_e32 v109, 0x3fb8aa3b, v94
	v_mul_f32_e32 v95, v33, v8
	v_fma_f32 v130, 0x3fb8aa3b, v92, -v107
	v_dual_mul_f32 v106, 0x3fb8aa3b, v70 :: v_dual_mul_f32 v99, v33, v4
	s_delay_alu instid0(VALU_DEP_4) | instskip(NEXT) | instid1(VALU_DEP_4)
	v_fma_f32 v134, 0x3fb8aa3b, v94, -v109
	v_mul_f32_e32 v110, 0x3fb8aa3b, v95
	v_rndne_f32_e32 v143, v113
	s_delay_alu instid0(VALU_DEP_4)
	v_fma_f32 v128, 0x3fb8aa3b, v70, -v106
	v_rndne_f32_e32 v129, v106
	v_fmac_f32_e32 v130, 0x32a5705f, v92
	v_fma_f32 v136, 0x3fb8aa3b, v95, -v110
	v_rndne_f32_e32 v137, v110
	v_fma_f32 v120, 0x3fb8aa3b, v52, -v102
	v_rndne_f32_e32 v121, v102
	v_fma_f32 v142, 0x3fb8aa3b, v98, -v113
	v_dual_fmac_f32 v124, 0x32a5705f, v56 :: v_dual_sub_f32 v113, v113, v143
	v_fmac_f32_e32 v140, 0x32a5705f, v97
	v_sub_f32_e32 v112, v112, v141
	v_sub_f32_e32 v106, v106, v129
	v_exp_f32_e32 v54, v54
	v_rndne_f32_e32 v131, v107
	v_rndne_f32_e32 v135, v109
	v_fmac_f32_e32 v120, 0x32a5705f, v52
	v_sub_f32_e32 v102, v102, v121
	v_cvt_i32_f32_e32 v115, v115
	v_exp_f32_e32 v71, v71
	v_sub_f32_e32 v109, v109, v135
	v_rndne_f32_e32 v139, v111
	v_dual_fmac_f32 v122, 0x32a5705f, v53 :: v_dual_sub_f32 v107, v107, v131
	v_mul_f32_e32 v114, 0x3fb8aa3b, v99
	v_cvt_i32_f32_e32 v117, v117
	v_ldexp_f32 v54, v54, v115
	v_cmp_ngt_f32_e64 s0, 0xc2ce8ed0, v34
	v_fma_f32 v132, 0x3fb8aa3b, v93, -v108
	v_rndne_f32_e32 v133, v108
	v_fma_f32 v138, 0x3fb8aa3b, v96, -v111
	v_sub_f32_e32 v111, v111, v139
	v_cvt_i32_f32_e32 v119, v119
	v_ldexp_f32 v71, v71, v117
	v_cndmask_b32_e64 v54, 0, v54, s0
	v_cmp_ngt_f32_e64 s0, 0xc2ce8ed0, v40
	v_cvt_i32_f32_e32 v121, v121
	v_cvt_i32_f32_e32 v123, v123
	;; [unrolled: 1-line block ×4, first 2 shown]
	v_cndmask_b32_e64 v71, 0, v71, s0
	v_cmp_ngt_f32_e64 s0, 0xc2ce8ed0, v51
	v_cvt_i32_f32_e32 v131, v131
	v_fmac_f32_e32 v138, 0x32a5705f, v96
	v_cvt_i32_f32_e32 v135, v135
	v_fmac_f32_e32 v142, 0x32a5705f, v98
	v_cvt_i32_f32_e32 v139, v139
	v_cvt_i32_f32_e32 v141, v141
	;; [unrolled: 1-line block ×3, first 2 shown]
	s_bfe_i64 s[12:13], s[22:23], 0x200000
	s_mov_b32 s18, 0
	s_waitcnt vmcnt(0)
	v_dual_mul_f32 v33, v33, v39 :: v_dual_fmac_f32 v134, 0x32a5705f, v94
	v_sub_f32_e32 v110, v110, v137
	v_sub_f32_e32 v108, v108, v133
	v_cvt_i32_f32_e32 v133, v133
	s_waitcnt lgkmcnt(7)
	v_dual_mul_f32 v57, v33, v57 :: v_dual_fmac_f32 v136, 0x32a5705f, v95
	v_fmac_f32_e32 v128, 0x32a5705f, v70
	v_sub_f32_e32 v104, v104, v125
	v_fmac_f32_e32 v118, 0x32a5705f, v51
	v_cvt_i32_f32_e32 v125, v125
	v_cvt_i32_f32_e32 v137, v137
	s_delay_alu instid0(VALU_DEP_3) | instskip(SKIP_3) | instid1(VALU_DEP_4)
	v_dual_add_f32 v100, v101, v118 :: v_dual_add_f32 v101, v102, v120
	v_fma_f32 v144, 0x3fb8aa3b, v99, -v114
	v_rndne_f32_e32 v145, v114
	v_add_f32_e32 v102, v103, v122
	v_exp_f32_e32 v100, v100
	v_exp_f32_e32 v101, v101
	v_fmac_f32_e32 v144, 0x32a5705f, v99
	v_sub_f32_e32 v114, v114, v145
	v_fmac_f32_e32 v132, 0x32a5705f, v93
	v_dual_fmac_f32 v126, 0x32a5705f, v69 :: v_dual_add_f32 v103, v104, v124
	v_exp_f32_e32 v102, v102
	v_cvt_i32_f32_e32 v145, v145
	s_delay_alu instid0(TRANS32_DEP_3) | instskip(NEXT) | instid1(VALU_DEP_3)
	v_ldexp_f32 v100, v100, v119
	v_add_f32_e32 v104, v105, v126
	v_exp_f32_e32 v103, v103
	v_ldexp_f32 v101, v101, v121
	v_add_f32_e32 v105, v106, v128
	v_cndmask_b32_e64 v100, 0, v100, s0
	v_cmp_ngt_f32_e64 s0, 0xc2ce8ed0, v52
	v_exp_f32_e32 v104, v104
	v_ldexp_f32 v102, v102, v123
	v_add_f32_e32 v106, v107, v130
	v_exp_f32_e32 v105, v105
	v_cndmask_b32_e64 v101, 0, v101, s0
	v_cmp_ngt_f32_e64 s0, 0xc2ce8ed0, v53
	v_ldexp_f32 v103, v103, v125
	v_add_f32_e32 v107, v108, v132
	v_exp_f32_e32 v106, v106
	v_add_f32_e32 v108, v109, v134
	v_cndmask_b32_e64 v102, 0, v102, s0
	v_cmp_ngt_f32_e64 s0, 0xc2ce8ed0, v56
	v_ldexp_f32 v104, v104, v127
	v_exp_f32_e32 v107, v107
	v_ldexp_f32 v105, v105, v129
	v_add_f32_e32 v109, v110, v136
	v_cndmask_b32_e64 v103, 0, v103, s0
	v_cmp_ngt_f32_e64 s0, 0xc2ce8ed0, v69
	v_exp_f32_e32 v108, v108
	v_ldexp_f32 v106, v106, v131
	v_add_f32_e32 v110, v111, v138
	v_exp_f32_e32 v109, v109
	v_cndmask_b32_e64 v104, 0, v104, s0
	v_cmp_ngt_f32_e64 s0, 0xc2ce8ed0, v70
	v_ldexp_f32 v107, v107, v133
	v_add_f32_e32 v111, v112, v140
	v_exp_f32_e32 v110, v110
	v_add_f32_e32 v112, v113, v142
	v_cndmask_b32_e64 v105, 0, v105, s0
	v_cmp_ngt_f32_e64 s0, 0xc2ce8ed0, v92
	v_ldexp_f32 v108, v108, v135
	v_exp_f32_e32 v111, v111
	v_ldexp_f32 v109, v109, v137
	v_exp_f32_e32 v112, v112
	v_cndmask_b32_e64 v106, 0, v106, s0
	v_cmp_ngt_f32_e64 s0, 0xc2ce8ed0, v93
	v_ldexp_f32 v110, v110, v139
	v_add_f32_e32 v113, v114, v144
	s_delay_alu instid0(VALU_DEP_3) | instskip(SKIP_1) | instid1(TRANS32_DEP_2)
	v_cndmask_b32_e64 v107, 0, v107, s0
	v_cmp_ngt_f32_e64 s0, 0xc2ce8ed0, v94
	v_ldexp_f32 v111, v111, v141
	s_delay_alu instid0(VALU_DEP_4) | instskip(NEXT) | instid1(TRANS32_DEP_2)
	v_exp_f32_e32 v113, v113
	v_ldexp_f32 v112, v112, v143
	s_delay_alu instid0(VALU_DEP_3) | instskip(SKIP_1) | instid1(VALU_DEP_1)
	v_cndmask_b32_e64 v108, 0, v108, s0
	v_cmp_ngt_f32_e64 s0, 0xc2ce8ed0, v95
	v_cndmask_b32_e64 v109, 0, v109, s0
	v_cmp_ngt_f32_e64 s0, 0xc2ce8ed0, v96
	s_waitcnt_depctr 0xfff
	v_ldexp_f32 v113, v113, v145
	v_cndmask_b32_e64 v110, 0, v110, s0
	v_cmp_ngt_f32_e64 s0, 0xc2ce8ed0, v97
	s_delay_alu instid0(VALU_DEP_1) | instskip(SKIP_1) | instid1(VALU_DEP_1)
	v_cndmask_b32_e64 v111, 0, v111, s0
	v_cmp_ngt_f32_e64 s0, 0xc2ce8ed0, v98
	v_cndmask_b32_e64 v39, 0, v112, s0
	v_cmp_nlt_f32_e64 s0, 0x42b17218, v34
	s_delay_alu instid0(VALU_DEP_1) | instskip(SKIP_1) | instid1(VALU_DEP_2)
	v_cndmask_b32_e64 v34, 0x7f800000, v54, s0
	v_cmp_ngt_f32_e64 s0, 0xc2ce8ed0, v99
	v_fmac_f32_e32 v57, v35, v34
	s_delay_alu instid0(VALU_DEP_2) | instskip(SKIP_2) | instid1(VALU_DEP_3)
	v_cndmask_b32_e64 v54, 0, v113, s0
	v_cmp_nlt_f32_e64 s0, 0x42b17218, v40
	s_waitcnt lgkmcnt(3)
	v_fma_f32 v35, v76, v57, 0
	s_delay_alu instid0(VALU_DEP_2)
	v_cndmask_b32_e64 v40, 0x7f800000, v71, s0
	v_cmp_nlt_f32_e64 s0, 0x42b17218, v51
	v_mul_f32_e32 v71, v33, v58
	v_mul_f32_e32 v58, v33, v59
	;; [unrolled: 1-line block ×4, first 2 shown]
	v_cndmask_b32_e64 v34, 0x7f800000, v100, s0
	v_cmp_nlt_f32_e64 s0, 0x42b17218, v52
	v_fmac_f32_e32 v71, v38, v40
	v_mul_f32_e32 v61, v33, v62
	v_mul_f32_e32 v62, v33, v63
	v_fmac_f32_e32 v58, v29, v34
	v_cndmask_b32_e64 v38, 0x7f800000, v101, s0
	v_cmp_nlt_f32_e64 s0, 0x42b17218, v53
	v_fmac_f32_e32 v35, v77, v71
	v_mul_f32_e32 v63, v33, v64
	s_delay_alu instid0(VALU_DEP_4) | instskip(NEXT) | instid1(VALU_DEP_4)
	v_dual_mul_f32 v64, v33, v65 :: v_dual_fmac_f32 v59, v30, v38
	v_cndmask_b32_e64 v29, 0x7f800000, v102, s0
	v_cmp_nlt_f32_e64 s0, 0x42b17218, v56
	v_fmac_f32_e32 v35, v78, v58
	v_mul_f32_e32 v65, v33, v66
	v_mul_f32_e32 v56, v33, v75
	v_fmac_f32_e32 v60, v31, v29
	v_cndmask_b32_e64 v30, 0x7f800000, v103, s0
	v_cmp_nlt_f32_e64 s0, 0x42b17218, v69
	v_mul_f32_e32 v69, v33, v73
	v_mul_f32_e32 v66, v33, v67
	;; [unrolled: 1-line block ×3, first 2 shown]
	v_fmac_f32_e32 v61, v32, v30
	v_cndmask_b32_e64 v29, 0x7f800000, v104, s0
	v_cmp_nlt_f32_e64 s0, 0x42b17218, v70
	v_dual_fmac_f32 v35, v79, v59 :: v_dual_mul_f32 v68, v33, v72
	v_mul_f32_e32 v70, v33, v74
	s_delay_alu instid0(VALU_DEP_4) | instskip(NEXT) | instid1(VALU_DEP_4)
	v_fmac_f32_e32 v62, v25, v29
	v_cndmask_b32_e64 v30, 0x7f800000, v105, s0
	v_cmp_nlt_f32_e64 s0, 0x42b17218, v92
	s_waitcnt lgkmcnt(2)
	v_fmac_f32_e32 v35, v80, v60
	s_delay_alu instid0(VALU_DEP_3) | instskip(NEXT) | instid1(VALU_DEP_3)
	v_fmac_f32_e32 v63, v26, v30
	v_cndmask_b32_e64 v25, 0x7f800000, v106, s0
	v_cmp_nlt_f32_e64 s0, 0x42b17218, v93
	s_delay_alu instid0(VALU_DEP_4) | instskip(NEXT) | instid1(VALU_DEP_3)
	v_fmac_f32_e32 v35, v81, v61
	v_fmac_f32_e32 v64, v27, v25
	s_delay_alu instid0(VALU_DEP_3) | instskip(SKIP_1) | instid1(VALU_DEP_2)
	v_cndmask_b32_e64 v26, 0x7f800000, v107, s0
	v_cmp_nlt_f32_e64 s0, 0x42b17218, v94
	v_fmac_f32_e32 v65, v28, v26
	s_delay_alu instid0(VALU_DEP_2) | instskip(SKIP_1) | instid1(VALU_DEP_2)
	v_cndmask_b32_e64 v25, 0x7f800000, v108, s0
	v_cmp_nlt_f32_e64 s0, 0x42b17218, v95
	v_fmac_f32_e32 v66, v36, v25
	s_delay_alu instid0(VALU_DEP_2) | instskip(SKIP_1) | instid1(VALU_DEP_2)
	v_cndmask_b32_e64 v26, 0x7f800000, v109, s0
	v_cmp_nlt_f32_e64 s0, 0x42b17218, v96
	v_fmac_f32_e32 v67, v22, v26
	v_fmac_f32_e32 v35, v82, v62
	s_delay_alu instid0(VALU_DEP_3) | instskip(SKIP_1) | instid1(VALU_DEP_3)
	v_cndmask_b32_e64 v25, 0x7f800000, v110, s0
	v_cmp_nlt_f32_e64 s0, 0x42b17218, v97
	v_fmac_f32_e32 v35, v83, v63
	s_delay_alu instid0(VALU_DEP_3) | instskip(NEXT) | instid1(VALU_DEP_3)
	v_fmac_f32_e32 v68, v23, v25
	v_cndmask_b32_e64 v22, 0x7f800000, v111, s0
	v_cmp_nlt_f32_e64 s0, 0x42b17218, v98
	s_waitcnt lgkmcnt(1)
	v_fmac_f32_e32 v35, v84, v64
	s_delay_alu instid0(VALU_DEP_3) | instskip(NEXT) | instid1(VALU_DEP_3)
	v_fmac_f32_e32 v69, v24, v22
	v_cndmask_b32_e64 v23, 0x7f800000, v39, s0
	v_cmp_nlt_f32_e64 s0, 0x42b17218, v99
	s_delay_alu instid0(VALU_DEP_4) | instskip(NEXT) | instid1(VALU_DEP_3)
	v_fmac_f32_e32 v35, v85, v65
	v_fmac_f32_e32 v70, v37, v23
	s_delay_alu instid0(VALU_DEP_3) | instskip(NEXT) | instid1(VALU_DEP_3)
	v_cndmask_b32_e64 v22, 0x7f800000, v54, s0
	v_fmac_f32_e32 v35, v86, v66
	s_lshl_b64 s[0:1], s[12:13], 2
	s_delay_alu instid0(VALU_DEP_1) | instskip(SKIP_1) | instid1(VALU_DEP_1)
	v_dual_fmac_f32 v56, v21, v22 :: v_dual_fmac_f32 v35, v87, v67
	v_add_co_u32 v21, s0, v47, s0
	v_add_co_ci_u32_e64 v22, s0, s1, v48, s0
	s_waitcnt lgkmcnt(0)
	s_delay_alu instid0(VALU_DEP_3) | instskip(NEXT) | instid1(VALU_DEP_1)
	v_fmac_f32_e32 v35, v88, v68
	v_fmac_f32_e32 v35, v89, v69
	s_delay_alu instid0(VALU_DEP_1) | instskip(NEXT) | instid1(VALU_DEP_1)
	v_fmac_f32_e32 v35, v90, v70
	v_fmac_f32_e32 v35, v91, v56
	global_store_b32 v[21:22], v35, off
	s_waitcnt_vscnt null, 0x0
	s_barrier
	buffer_gl0_inv
	s_and_saveexec_b32 s1, vcc_lo
	s_cbranch_execz .LBB7_10
; %bb.9:
	s_lshl_b64 s[24:25], s[2:3], 3
	s_delay_alu instid0(SALU_CYCLE_1) | instskip(NEXT) | instid1(VALU_DEP_1)
	v_add_co_u32 v21, s0, v43, s24
	v_add_co_ci_u32_e64 v22, s0, s25, v44, s0
	s_lshl_b64 s[24:25], s[10:11], 3
	s_delay_alu instid0(SALU_CYCLE_1) | instskip(NEXT) | instid1(VALU_DEP_1)
	v_add_co_u32 v23, s0, v45, s24
	v_add_co_ci_u32_e64 v24, s0, s25, v46, s0
	global_load_b32 v21, v[21:22], off
	global_load_b32 v22, v[23:24], off
	s_waitcnt vmcnt(1)
	ds_store_b32 v55, v21
	s_waitcnt vmcnt(0)
	ds_store_b32 v0, v22
.LBB7_10:
	s_or_b32 exec_lo, exec_lo, s1
	v_add_co_u32 v51, s0, v17, s8
	s_delay_alu instid0(VALU_DEP_1)
	v_add_co_ci_u32_e64 v52, s0, s9, v18, s0
	s_waitcnt lgkmcnt(0)
	s_barrier
	buffer_gl0_inv
	global_load_b32 v72, v[51:52], off
	s_mov_b32 s19, s22
	s_mov_b32 s4, exec_lo
	s_waitcnt vmcnt(0)
	v_cmpx_ge_f32_e32 0x41a00000, v72
	s_cbranch_execz .LBB7_12
; %bb.11:
	v_mul_f32_e32 v17, 0x3fb8aa3b, v72
	v_cmp_ngt_f32_e64 s0, 0xc2ce8ed0, v72
	s_delay_alu instid0(VALU_DEP_2) | instskip(SKIP_1) | instid1(VALU_DEP_2)
	v_rndne_f32_e32 v18, v17
	v_fma_f32 v21, 0x3fb8aa3b, v72, -v17
	v_sub_f32_e32 v17, v17, v18
	s_delay_alu instid0(VALU_DEP_2) | instskip(SKIP_1) | instid1(VALU_DEP_2)
	v_fmamk_f32 v21, v72, 0x32a5705f, v21
	v_cvt_i32_f32_e32 v18, v18
	v_add_f32_e32 v17, v17, v21
	s_delay_alu instid0(VALU_DEP_1) | instskip(SKIP_2) | instid1(VALU_DEP_1)
	v_exp_f32_e32 v17, v17
	s_waitcnt_depctr 0xfff
	v_ldexp_f32 v17, v17, v18
	v_cndmask_b32_e64 v17, 0, v17, s0
	v_cmp_nlt_f32_e64 s0, 0x42b17218, v72
	s_delay_alu instid0(VALU_DEP_1) | instskip(NEXT) | instid1(VALU_DEP_1)
	v_cndmask_b32_e64 v21, 0x7f800000, v17, s0
	v_add_f32_e32 v22, 1.0, v21
	v_cmp_gt_f32_e64 s1, 0x33800000, v21
	s_delay_alu instid0(VALU_DEP_2) | instskip(NEXT) | instid1(VALU_DEP_1)
	v_cvt_f64_f32_e32 v[17:18], v22
	v_frexp_exp_i32_f64_e32 v17, v[17:18]
	v_frexp_mant_f32_e32 v18, v22
	s_delay_alu instid0(VALU_DEP_1) | instskip(SKIP_1) | instid1(VALU_DEP_1)
	v_cmp_gt_f32_e64 s0, 0x3f2aaaab, v18
	v_add_f32_e32 v18, -1.0, v22
	v_sub_f32_e32 v24, v18, v22
	v_sub_f32_e32 v18, v21, v18
	s_delay_alu instid0(VALU_DEP_2) | instskip(NEXT) | instid1(VALU_DEP_1)
	v_add_f32_e32 v24, 1.0, v24
	v_add_f32_e32 v18, v18, v24
	v_subrev_co_ci_u32_e64 v17, s0, 0, v17, s0
	s_mov_b32 s0, 0x3e9b6dac
	s_delay_alu instid0(VALU_DEP_1) | instskip(SKIP_1) | instid1(VALU_DEP_2)
	v_sub_nc_u32_e32 v23, 0, v17
	v_cvt_f32_i32_e32 v17, v17
	v_ldexp_f32 v22, v22, v23
	v_ldexp_f32 v18, v18, v23
	s_delay_alu instid0(VALU_DEP_2) | instskip(NEXT) | instid1(VALU_DEP_1)
	v_add_f32_e32 v25, 1.0, v22
	v_dual_add_f32 v23, -1.0, v22 :: v_dual_add_f32 v24, -1.0, v25
	s_delay_alu instid0(VALU_DEP_1) | instskip(NEXT) | instid1(VALU_DEP_2)
	v_add_f32_e32 v26, 1.0, v23
	v_sub_f32_e32 v24, v22, v24
	s_delay_alu instid0(VALU_DEP_2) | instskip(NEXT) | instid1(VALU_DEP_2)
	v_sub_f32_e32 v22, v22, v26
	v_add_f32_e32 v24, v18, v24
	s_delay_alu instid0(VALU_DEP_2) | instskip(NEXT) | instid1(VALU_DEP_1)
	v_add_f32_e32 v18, v18, v22
	v_dual_add_f32 v27, v23, v18 :: v_dual_add_f32 v26, v25, v24
	s_delay_alu instid0(VALU_DEP_1) | instskip(NEXT) | instid1(VALU_DEP_2)
	v_sub_f32_e32 v23, v23, v27
	v_rcp_f32_e32 v22, v26
	v_sub_f32_e32 v25, v25, v26
	s_delay_alu instid0(VALU_DEP_1) | instskip(SKIP_2) | instid1(VALU_DEP_1)
	v_add_f32_e32 v24, v24, v25
	s_waitcnt_depctr 0xfff
	v_mul_f32_e32 v28, v27, v22
	v_mul_f32_e32 v29, v26, v28
	s_delay_alu instid0(VALU_DEP_1) | instskip(NEXT) | instid1(VALU_DEP_1)
	v_fma_f32 v25, v28, v26, -v29
	v_fmac_f32_e32 v25, v28, v24
	s_delay_alu instid0(VALU_DEP_1) | instskip(NEXT) | instid1(VALU_DEP_1)
	v_add_f32_e32 v30, v29, v25
	v_sub_f32_e32 v31, v27, v30
	s_delay_alu instid0(VALU_DEP_1) | instskip(SKIP_2) | instid1(VALU_DEP_3)
	v_sub_f32_e32 v27, v27, v31
	v_add_f32_e32 v18, v18, v23
	v_sub_f32_e32 v23, v30, v29
	v_sub_f32_e32 v27, v27, v30
	s_delay_alu instid0(VALU_DEP_1) | instskip(NEXT) | instid1(VALU_DEP_1)
	v_dual_sub_f32 v23, v23, v25 :: v_dual_add_f32 v18, v18, v27
	v_add_f32_e32 v18, v23, v18
	s_delay_alu instid0(VALU_DEP_1) | instskip(NEXT) | instid1(VALU_DEP_1)
	v_add_f32_e32 v23, v31, v18
	v_mul_f32_e32 v25, v22, v23
	s_delay_alu instid0(VALU_DEP_1) | instskip(NEXT) | instid1(VALU_DEP_1)
	v_dual_sub_f32 v30, v31, v23 :: v_dual_mul_f32 v27, v26, v25
	v_add_f32_e32 v18, v18, v30
	s_delay_alu instid0(VALU_DEP_2) | instskip(NEXT) | instid1(VALU_DEP_1)
	v_fma_f32 v26, v25, v26, -v27
	v_fmac_f32_e32 v26, v25, v24
	s_delay_alu instid0(VALU_DEP_1) | instskip(NEXT) | instid1(VALU_DEP_1)
	v_add_f32_e32 v24, v27, v26
	v_sub_f32_e32 v29, v23, v24
	s_delay_alu instid0(VALU_DEP_1) | instskip(NEXT) | instid1(VALU_DEP_1)
	v_sub_f32_e32 v23, v23, v29
	v_sub_f32_e32 v23, v23, v24
	s_delay_alu instid0(VALU_DEP_1) | instskip(SKIP_1) | instid1(VALU_DEP_1)
	v_dual_add_f32 v18, v18, v23 :: v_dual_add_f32 v23, v28, v25
	v_sub_f32_e32 v27, v24, v27
	v_sub_f32_e32 v24, v27, v26
	s_delay_alu instid0(VALU_DEP_1) | instskip(NEXT) | instid1(VALU_DEP_4)
	v_add_f32_e32 v18, v24, v18
	v_sub_f32_e32 v24, v23, v28
	s_delay_alu instid0(VALU_DEP_2) | instskip(NEXT) | instid1(VALU_DEP_2)
	v_add_f32_e32 v18, v29, v18
	v_sub_f32_e32 v24, v25, v24
	s_delay_alu instid0(VALU_DEP_2) | instskip(NEXT) | instid1(VALU_DEP_1)
	v_mul_f32_e32 v18, v22, v18
	v_add_f32_e32 v18, v24, v18
	s_delay_alu instid0(VALU_DEP_1) | instskip(NEXT) | instid1(VALU_DEP_1)
	v_add_f32_e32 v22, v23, v18
	v_mul_f32_e32 v24, v22, v22
	s_delay_alu instid0(VALU_DEP_1) | instskip(SKIP_2) | instid1(VALU_DEP_3)
	v_fmaak_f32 v25, s0, v24, 0x3ecc95a3
	v_mul_f32_e32 v26, v22, v24
	v_cmp_eq_f32_e64 s0, 0x7f800000, v21
	v_fmaak_f32 v24, v24, v25, 0x3f2aaada
	v_ldexp_f32 v25, v22, 1
	v_sub_f32_e32 v22, v22, v23
	s_delay_alu instid0(VALU_DEP_4) | instskip(NEXT) | instid1(VALU_DEP_3)
	s_or_b32 s0, s1, s0
	v_mul_f32_e32 v24, v26, v24
	v_mul_f32_e32 v26, 0x3f317218, v17
	s_delay_alu instid0(VALU_DEP_2) | instskip(NEXT) | instid1(VALU_DEP_1)
	v_dual_sub_f32 v18, v18, v22 :: v_dual_add_f32 v23, v25, v24
	v_ldexp_f32 v18, v18, 1
	s_delay_alu instid0(VALU_DEP_2) | instskip(NEXT) | instid1(VALU_DEP_4)
	v_sub_f32_e32 v22, v23, v25
	v_fma_f32 v25, 0x3f317218, v17, -v26
	s_delay_alu instid0(VALU_DEP_1) | instskip(NEXT) | instid1(VALU_DEP_1)
	v_dual_sub_f32 v22, v24, v22 :: v_dual_fmamk_f32 v17, v17, 0xb102e308, v25
	v_add_f32_e32 v18, v18, v22
	s_delay_alu instid0(VALU_DEP_2) | instskip(NEXT) | instid1(VALU_DEP_2)
	v_add_f32_e32 v22, v26, v17
	v_add_f32_e32 v24, v23, v18
	s_delay_alu instid0(VALU_DEP_2) | instskip(NEXT) | instid1(VALU_DEP_2)
	v_sub_f32_e32 v26, v22, v26
	v_add_f32_e32 v25, v22, v24
	v_sub_f32_e32 v23, v24, v23
	s_delay_alu instid0(VALU_DEP_3) | instskip(NEXT) | instid1(VALU_DEP_2)
	v_sub_f32_e32 v17, v17, v26
	v_dual_sub_f32 v27, v25, v22 :: v_dual_sub_f32 v18, v18, v23
	s_delay_alu instid0(VALU_DEP_1) | instskip(NEXT) | instid1(VALU_DEP_2)
	v_sub_f32_e32 v28, v25, v27
	v_dual_sub_f32 v23, v24, v27 :: v_dual_add_f32 v24, v17, v18
	s_delay_alu instid0(VALU_DEP_2) | instskip(NEXT) | instid1(VALU_DEP_1)
	v_sub_f32_e32 v22, v22, v28
	v_dual_add_f32 v22, v23, v22 :: v_dual_sub_f32 v23, v24, v17
	s_delay_alu instid0(VALU_DEP_1) | instskip(NEXT) | instid1(VALU_DEP_2)
	v_add_f32_e32 v22, v24, v22
	v_sub_f32_e32 v24, v24, v23
	v_sub_f32_e32 v18, v18, v23
	s_delay_alu instid0(VALU_DEP_3) | instskip(NEXT) | instid1(VALU_DEP_3)
	v_add_f32_e32 v26, v25, v22
	v_sub_f32_e32 v17, v17, v24
	s_delay_alu instid0(VALU_DEP_2) | instskip(NEXT) | instid1(VALU_DEP_2)
	v_sub_f32_e32 v23, v26, v25
	v_add_f32_e32 v17, v18, v17
	s_delay_alu instid0(VALU_DEP_2) | instskip(NEXT) | instid1(VALU_DEP_1)
	v_sub_f32_e32 v18, v22, v23
	v_add_f32_e32 v17, v17, v18
	s_delay_alu instid0(VALU_DEP_1) | instskip(NEXT) | instid1(VALU_DEP_1)
	v_add_f32_e32 v17, v26, v17
	v_cndmask_b32_e64 v72, v17, v21, s0
.LBB7_12:
	s_or_b32 exec_lo, exec_lo, s4
	v_add_co_u32 v53, s0, v19, s16
	s_delay_alu instid0(VALU_DEP_1) | instskip(NEXT) | instid1(VALU_DEP_3)
	v_add_co_ci_u32_e64 v54, s0, s17, v20, s0
	v_dual_mov_b32 v21, 0 :: v_dual_mul_f32 v76, v72, v15
	v_mul_f32_e32 v73, v72, v13
	global_load_b32 v74, v[53:54], off
	ds_load_b128 v[90:93], v21
	ds_load_b128 v[37:40], v21 offset:16
	ds_load_b128 v[25:28], v21 offset:32
	;; [unrolled: 1-line block ×3, first 2 shown]
	v_dual_mul_f32 v100, 0x3fb8aa3b, v76 :: v_dual_mul_f32 v75, v72, v14
	v_mul_f32_e32 v98, 0x3fb8aa3b, v73
	v_mul_f32_e32 v78, v72, v9
	v_cmp_ngt_f32_e64 s0, 0xc2ce8ed0, v73
	s_delay_alu instid0(VALU_DEP_4) | instskip(SKIP_1) | instid1(VALU_DEP_4)
	v_fma_f32 v118, 0x3fb8aa3b, v76, -v100
	v_mul_f32_e32 v99, 0x3fb8aa3b, v75
	v_dual_mul_f32 v77, v72, v16 :: v_dual_mul_f32 v102, 0x3fb8aa3b, v78
	v_mul_f32_e32 v80, v72, v11
	v_fma_f32 v114, 0x3fb8aa3b, v73, -v98
	v_mul_f32_e32 v89, v72, v4
	s_delay_alu instid0(VALU_DEP_4) | instskip(NEXT) | instid1(VALU_DEP_4)
	v_mul_f32_e32 v101, 0x3fb8aa3b, v77
	v_dual_mul_f32 v79, v72, v10 :: v_dual_mul_f32 v104, 0x3fb8aa3b, v80
	v_mul_f32_e32 v82, v72, v5
	v_rndne_f32_e32 v115, v98
	v_fma_f32 v116, 0x3fb8aa3b, v75, -v99
	s_delay_alu instid0(VALU_DEP_4) | instskip(NEXT) | instid1(VALU_DEP_4)
	v_mul_f32_e32 v103, 0x3fb8aa3b, v79
	v_dual_mul_f32 v81, v72, v12 :: v_dual_mul_f32 v106, 0x3fb8aa3b, v82
	v_mul_f32_e32 v84, v72, v7
	v_rndne_f32_e32 v117, v99
	v_fmac_f32_e32 v114, 0x32a5705f, v73
	s_delay_alu instid0(VALU_DEP_4) | instskip(NEXT) | instid1(VALU_DEP_4)
	v_mul_f32_e32 v105, 0x3fb8aa3b, v81
	v_dual_mul_f32 v83, v72, v6 :: v_dual_mul_f32 v108, 0x3fb8aa3b, v84
	v_mul_f32_e32 v86, v72, v1
	v_dual_mul_f32 v113, 0x3fb8aa3b, v89 :: v_dual_sub_f32 v98, v98, v115
	s_delay_alu instid0(VALU_DEP_3) | instskip(NEXT) | instid1(VALU_DEP_3)
	v_mul_f32_e32 v107, 0x3fb8aa3b, v83
	v_dual_mul_f32 v85, v72, v8 :: v_dual_mul_f32 v110, 0x3fb8aa3b, v86
	v_mul_f32_e32 v88, v72, v3
	v_rndne_f32_e32 v119, v100
	v_fma_f32 v120, 0x3fb8aa3b, v77, -v101
	s_delay_alu instid0(VALU_DEP_4) | instskip(NEXT) | instid1(VALU_DEP_4)
	v_mul_f32_e32 v109, 0x3fb8aa3b, v85
	v_dual_mul_f32 v87, v72, v2 :: v_dual_mul_f32 v112, 0x3fb8aa3b, v88
	v_dual_fmac_f32 v116, 0x32a5705f, v75 :: v_dual_sub_f32 v99, v99, v117
	s_delay_alu instid0(VALU_DEP_2)
	v_dual_add_f32 v98, v98, v114 :: v_dual_mul_f32 v111, 0x3fb8aa3b, v87
	v_rndne_f32_e32 v121, v101
	v_rndne_f32_e32 v125, v103
	v_fmac_f32_e32 v118, 0x32a5705f, v76
	v_sub_f32_e32 v100, v100, v119
	v_dual_fmac_f32 v120, 0x32a5705f, v77 :: v_dual_add_f32 v99, v99, v116
	v_exp_f32_e32 v98, v98
	v_fma_f32 v122, 0x3fb8aa3b, v78, -v102
	v_rndne_f32_e32 v123, v102
	v_fma_f32 v124, 0x3fb8aa3b, v79, -v103
	v_fma_f32 v128, 0x3fb8aa3b, v81, -v105
	v_cvt_i32_f32_e32 v115, v115
	v_sub_f32_e32 v101, v101, v121
	v_sub_f32_e32 v103, v103, v125
	v_exp_f32_e32 v99, v99
	v_rndne_f32_e32 v129, v105
	v_rndne_f32_e32 v133, v107
	v_cvt_i32_f32_e32 v117, v117
	v_fmac_f32_e32 v122, 0x32a5705f, v78
	v_sub_f32_e32 v102, v102, v123
	v_dual_fmac_f32 v128, 0x32a5705f, v81 :: v_dual_add_f32 v101, v101, v120
	v_ldexp_f32 v98, v98, v115
	v_fma_f32 v126, 0x3fb8aa3b, v80, -v104
	v_rndne_f32_e32 v127, v104
	v_fma_f32 v130, 0x3fb8aa3b, v82, -v106
	v_fma_f32 v132, 0x3fb8aa3b, v83, -v107
	v_rndne_f32_e32 v137, v109
	v_cvt_i32_f32_e32 v119, v119
	v_dual_fmac_f32 v124, 0x32a5705f, v79 :: v_dual_sub_f32 v105, v105, v129
	v_dual_sub_f32 v107, v107, v133 :: v_dual_add_f32 v102, v102, v122
	v_exp_f32_e32 v101, v101
	v_ldexp_f32 v99, v99, v117
	v_cndmask_b32_e64 v98, 0, v98, s0
	v_cmp_ngt_f32_e64 s0, 0xc2ce8ed0, v75
	v_fma_f32 v136, 0x3fb8aa3b, v85, -v109
	v_rndne_f32_e32 v141, v111
	v_rndne_f32_e32 v145, v113
	v_cvt_i32_f32_e32 v121, v121
	v_fmac_f32_e32 v126, 0x32a5705f, v80
	v_dual_sub_f32 v104, v104, v127 :: v_dual_sub_f32 v109, v109, v137
	v_dual_fmac_f32 v130, 0x32a5705f, v82 :: v_dual_add_f32 v103, v103, v124
	v_exp_f32_e32 v102, v102
	v_cndmask_b32_e64 v99, 0, v99, s0
	v_cmp_ngt_f32_e64 s0, 0xc2ce8ed0, v76
	ds_load_b128 v[94:97], v21 offset:64
	ds_load_b128 v[33:36], v21 offset:80
	v_rndne_f32_e32 v131, v106
	v_fma_f32 v140, 0x3fb8aa3b, v87, -v111
	v_fma_f32 v144, 0x3fb8aa3b, v89, -v113
	v_cvt_i32_f32_e32 v123, v123
	v_sub_f32_e32 v111, v111, v141
	v_dual_sub_f32 v113, v113, v145 :: v_dual_add_f32 v104, v104, v126
	v_exp_f32_e32 v103, v103
	v_ldexp_f32 v101, v101, v121
	v_cvt_i32_f32_e32 v125, v125
	v_dual_sub_f32 v106, v106, v131 :: v_dual_add_f32 v105, v105, v128
	v_exp_f32_e32 v104, v104
	v_ldexp_f32 v102, v102, v123
	v_fma_f32 v134, 0x3fb8aa3b, v84, -v108
	v_rndne_f32_e32 v135, v108
	v_cvt_i32_f32_e32 v127, v127
	v_add_f32_e32 v106, v106, v130
	v_exp_f32_e32 v105, v105
	v_ldexp_f32 v103, v103, v125
	v_cvt_i32_f32_e32 v129, v129
	v_fma_f32 v138, 0x3fb8aa3b, v86, -v110
	v_exp_f32_e32 v106, v106
	v_ldexp_f32 v104, v104, v127
	v_rndne_f32_e32 v139, v110
	v_cvt_i32_f32_e32 v131, v131
	v_cvt_i32_f32_e32 v133, v133
	v_fmac_f32_e32 v144, 0x32a5705f, v89
	v_ldexp_f32 v105, v105, v129
	v_fmac_f32_e32 v138, 0x32a5705f, v86
	v_sub_f32_e32 v110, v110, v139
	v_fma_f32 v142, 0x3fb8aa3b, v88, -v112
	v_ldexp_f32 v106, v106, v131
	v_rndne_f32_e32 v143, v112
	s_delay_alu instid0(VALU_DEP_4)
	v_dual_add_f32 v113, v113, v144 :: v_dual_add_f32 v110, v110, v138
	v_cvt_i32_f32_e32 v137, v137
	v_fmac_f32_e32 v142, 0x32a5705f, v88
	v_cvt_i32_f32_e32 v139, v139
	v_cvt_i32_f32_e32 v141, v141
	v_exp_f32_e32 v110, v110
	v_exp_f32_e32 v113, v113
	v_cvt_i32_f32_e32 v145, v145
	ds_load_b128 v[29:32], v21 offset:96
	ds_load_b128 v[21:24], v21 offset:112
	v_ldexp_f32 v110, v110, v139
	v_ldexp_f32 v113, v113, v145
	s_waitcnt vmcnt(0)
	v_mul_f32_e32 v74, v72, v74
	v_add_f32_e32 v100, v100, v118
	v_fmac_f32_e32 v140, 0x32a5705f, v87
	v_fmac_f32_e32 v136, 0x32a5705f, v85
	s_waitcnt lgkmcnt(6)
	v_dual_fmac_f32 v134, 0x32a5705f, v84 :: v_dual_mul_f32 v37, v74, v37
	v_exp_f32_e32 v100, v100
	v_dual_add_f32 v111, v111, v140 :: v_dual_fmac_f32 v132, 0x32a5705f, v83
	v_dual_add_f32 v109, v109, v136 :: v_dual_sub_f32 v108, v108, v135
	v_mul_f32_e32 v39, v74, v39
	v_cvt_i32_f32_e32 v135, v135
	s_delay_alu instid0(VALU_DEP_4) | instskip(NEXT) | instid1(VALU_DEP_4)
	v_add_f32_e32 v107, v107, v132
	v_exp_f32_e32 v109, v109
	v_add_f32_e32 v108, v108, v134
	s_delay_alu instid0(TRANS32_DEP_2)
	v_ldexp_f32 v100, v100, v119
	v_sub_f32_e32 v112, v112, v143
	v_exp_f32_e32 v107, v107
	v_exp_f32_e32 v111, v111
	;; [unrolled: 1-line block ×3, first 2 shown]
	v_cndmask_b32_e64 v100, 0, v100, s0
	v_cmp_ngt_f32_e64 s0, 0xc2ce8ed0, v77
	v_add_f32_e32 v112, v112, v142
	v_ldexp_f32 v109, v109, v137
	v_cvt_i32_f32_e32 v143, v143
	v_mul_f32_e32 v72, v74, v90
	v_cndmask_b32_e64 v101, 0, v101, s0
	v_cmp_ngt_f32_e64 s0, 0xc2ce8ed0, v78
	v_ldexp_f32 v107, v107, v133
	v_ldexp_f32 v108, v108, v135
	v_exp_f32_e32 v112, v112
	v_ldexp_f32 v111, v111, v141
	v_cndmask_b32_e64 v102, 0, v102, s0
	v_cmp_ngt_f32_e64 s0, 0xc2ce8ed0, v79
	v_mul_f32_e32 v38, v74, v38
	s_delay_alu instid0(VALU_DEP_2) | instskip(SKIP_1) | instid1(TRANS32_DEP_1)
	v_cndmask_b32_e64 v103, 0, v103, s0
	v_cmp_ngt_f32_e64 s0, 0xc2ce8ed0, v80
	v_ldexp_f32 v112, v112, v143
	s_delay_alu instid0(VALU_DEP_2) | instskip(SKIP_1) | instid1(VALU_DEP_1)
	v_cndmask_b32_e64 v104, 0, v104, s0
	v_cmp_ngt_f32_e64 s0, 0xc2ce8ed0, v81
	v_cndmask_b32_e64 v105, 0, v105, s0
	v_cmp_ngt_f32_e64 s0, 0xc2ce8ed0, v82
	s_delay_alu instid0(VALU_DEP_1) | instskip(SKIP_1) | instid1(VALU_DEP_1)
	v_cndmask_b32_e64 v106, 0, v106, s0
	v_cmp_ngt_f32_e64 s0, 0xc2ce8ed0, v83
	v_cndmask_b32_e64 v107, 0, v107, s0
	v_cmp_ngt_f32_e64 s0, 0xc2ce8ed0, v84
	s_delay_alu instid0(VALU_DEP_1) | instskip(SKIP_1) | instid1(VALU_DEP_1)
	;; [unrolled: 5-line block ×3, first 2 shown]
	v_cndmask_b32_e64 v110, 0, v110, s0
	v_cmp_ngt_f32_e64 s0, 0xc2ce8ed0, v87
	v_cndmask_b32_e64 v111, 0, v111, s0
	v_cmp_ngt_f32_e64 s0, 0xc2ce8ed0, v88
	s_delay_alu instid0(VALU_DEP_1) | instskip(SKIP_2) | instid1(VALU_DEP_2)
	v_cndmask_b32_e64 v112, 0, v112, s0
	v_cmp_nlt_f32_e64 s0, 0x42b17218, v73
	v_mul_f32_e32 v73, v74, v91
	v_cndmask_b32_e64 v98, 0x7f800000, v98, s0
	v_cmp_ngt_f32_e64 s0, 0xc2ce8ed0, v89
	s_delay_alu instid0(VALU_DEP_2) | instskip(NEXT) | instid1(VALU_DEP_2)
	v_fmac_f32_e32 v72, v57, v98
	v_cndmask_b32_e64 v90, 0, v113, s0
	v_cmp_nlt_f32_e64 s0, 0x42b17218, v75
	v_mul_f32_e32 v57, v74, v92
	s_delay_alu instid0(VALU_DEP_2) | instskip(SKIP_1) | instid1(VALU_DEP_2)
	v_cndmask_b32_e64 v75, 0x7f800000, v99, s0
	v_cmp_nlt_f32_e64 s0, 0x42b17218, v76
	v_fmac_f32_e32 v73, v71, v75
	s_delay_alu instid0(VALU_DEP_2)
	v_cndmask_b32_e64 v76, 0x7f800000, v100, s0
	v_cmp_nlt_f32_e64 s0, 0x42b17218, v77
	s_waitcnt lgkmcnt(3)
	v_fma_f32 v75, v94, v72, 0
	v_mul_f32_e32 v71, v74, v93
	v_fmac_f32_e32 v57, v58, v76
	v_cndmask_b32_e64 v77, 0x7f800000, v101, s0
	v_cmp_nlt_f32_e64 s0, 0x42b17218, v78
	v_fmac_f32_e32 v75, v95, v73
	s_delay_alu instid0(VALU_DEP_3) | instskip(NEXT) | instid1(VALU_DEP_3)
	v_fmac_f32_e32 v71, v59, v77
	v_cndmask_b32_e64 v58, 0x7f800000, v102, s0
	v_cmp_nlt_f32_e64 s0, 0x42b17218, v79
	s_delay_alu instid0(VALU_DEP_4) | instskip(NEXT) | instid1(VALU_DEP_2)
	v_fmac_f32_e32 v75, v96, v57
	v_cndmask_b32_e64 v59, 0x7f800000, v103, s0
	v_cmp_nlt_f32_e64 s0, 0x42b17218, v80
	v_fmac_f32_e32 v37, v60, v58
	s_delay_alu instid0(VALU_DEP_4) | instskip(NEXT) | instid1(VALU_DEP_4)
	v_fmac_f32_e32 v75, v97, v71
	v_fmac_f32_e32 v38, v61, v59
	s_delay_alu instid0(VALU_DEP_4) | instskip(SKIP_4) | instid1(VALU_DEP_3)
	v_cndmask_b32_e64 v58, 0x7f800000, v104, s0
	v_cmp_nlt_f32_e64 s0, 0x42b17218, v81
	s_waitcnt lgkmcnt(2)
	v_fmac_f32_e32 v75, v33, v37
	v_mul_f32_e32 v33, v74, v40
	v_cndmask_b32_e64 v59, 0x7f800000, v105, s0
	v_cmp_nlt_f32_e64 s0, 0x42b17218, v82
	s_delay_alu instid0(VALU_DEP_4) | instskip(NEXT) | instid1(VALU_DEP_3)
	v_fmac_f32_e32 v75, v34, v38
	v_fmac_f32_e32 v33, v63, v59
	s_delay_alu instid0(VALU_DEP_3)
	v_cndmask_b32_e64 v40, 0x7f800000, v106, s0
	v_cmp_nlt_f32_e64 s0, 0x42b17218, v83
	v_mul_f32_e32 v34, v74, v25
	v_fmac_f32_e32 v39, v62, v58
	v_mul_f32_e32 v58, v74, v17
	v_mul_f32_e32 v59, v74, v18
	v_cndmask_b32_e64 v25, 0x7f800000, v107, s0
	v_cmp_nlt_f32_e64 s0, 0x42b17218, v84
	v_dual_fmac_f32 v34, v64, v40 :: v_dual_fmac_f32 v75, v35, v39
	v_mul_f32_e32 v35, v74, v26
	v_mul_f32_e32 v61, v74, v20
	s_delay_alu instid0(VALU_DEP_4) | instskip(SKIP_3) | instid1(VALU_DEP_3)
	v_cndmask_b32_e64 v26, 0x7f800000, v108, s0
	v_cmp_nlt_f32_e64 s0, 0x42b17218, v85
	v_dual_fmac_f32 v75, v36, v33 :: v_dual_mul_f32 v36, v74, v27
	v_fmac_f32_e32 v35, v65, v25
	v_cndmask_b32_e64 v25, 0x7f800000, v109, s0
	s_waitcnt lgkmcnt(1)
	s_delay_alu instid0(VALU_DEP_3) | instskip(SKIP_2) | instid1(VALU_DEP_2)
	v_fmac_f32_e32 v75, v29, v34
	v_cmp_nlt_f32_e64 s0, 0x42b17218, v86
	v_fmac_f32_e32 v36, v66, v26
	v_cndmask_b32_e64 v26, 0x7f800000, v110, s0
	v_cmp_nlt_f32_e64 s0, 0x42b17218, v87
	s_delay_alu instid0(VALU_DEP_2) | instskip(NEXT) | instid1(VALU_DEP_2)
	v_dual_fmac_f32 v75, v30, v35 :: v_dual_fmac_f32 v58, v68, v26
	v_cndmask_b32_e64 v17, 0x7f800000, v111, s0
	v_mul_f32_e32 v40, v74, v28
	s_delay_alu instid0(VALU_DEP_3) | instskip(SKIP_1) | instid1(VALU_DEP_4)
	v_fmac_f32_e32 v75, v31, v36
	v_cmp_nlt_f32_e64 s0, 0x42b17218, v88
	v_fmac_f32_e32 v59, v69, v17
	s_delay_alu instid0(VALU_DEP_4) | instskip(NEXT) | instid1(VALU_DEP_3)
	v_fmac_f32_e32 v40, v67, v25
	v_cndmask_b32_e64 v18, 0x7f800000, v112, s0
	v_cmp_nlt_f32_e64 s0, 0x42b17218, v89
	s_delay_alu instid0(VALU_DEP_3) | instskip(NEXT) | instid1(VALU_DEP_2)
	v_dual_fmac_f32 v75, v32, v40 :: v_dual_mul_f32 v60, v74, v19
	v_cndmask_b32_e64 v17, 0x7f800000, v90, s0
	s_ashr_i64 s[0:1], s[18:19], 29
	s_waitcnt lgkmcnt(0)
	s_delay_alu instid0(VALU_DEP_2) | instskip(NEXT) | instid1(VALU_DEP_2)
	v_fmac_f32_e32 v75, v21, v58
	v_dual_fmac_f32 v60, v70, v18 :: v_dual_fmac_f32 v61, v56, v17
	v_add_co_u32 v17, s0, v47, s0
	s_delay_alu instid0(VALU_DEP_3) | instskip(SKIP_1) | instid1(VALU_DEP_2)
	v_fmac_f32_e32 v75, v22, v59
	v_add_co_ci_u32_e64 v18, s0, s1, v48, s0
	v_fmac_f32_e32 v75, v23, v60
	s_delay_alu instid0(VALU_DEP_1)
	v_fmac_f32_e32 v75, v24, v61
	global_store_b32 v[17:18], v75, off
	s_waitcnt_vscnt null, 0x0
	s_barrier
	buffer_gl0_inv
	s_and_saveexec_b32 s0, vcc_lo
	s_cbranch_execz .LBB7_14
; %bb.13:
	v_mad_i64_i32 v[17:18], null, s2, 12, v[43:44]
	v_mad_i64_i32 v[19:20], null, s10, 12, v[45:46]
	global_load_b32 v17, v[17:18], off
	global_load_b32 v18, v[19:20], off
	s_waitcnt vmcnt(1)
	ds_store_b32 v55, v17
	s_waitcnt vmcnt(0)
	ds_store_b32 v0, v18
.LBB7_14:
	s_or_b32 exec_lo, exec_lo, s0
	v_add_co_u32 v17, s0, v51, s8
	s_delay_alu instid0(VALU_DEP_1)
	v_add_co_ci_u32_e64 v18, s0, s9, v52, s0
	s_waitcnt lgkmcnt(0)
	s_barrier
	buffer_gl0_inv
	global_load_b32 v21, v[17:18], off
	s_mov_b32 s4, exec_lo
	s_waitcnt vmcnt(0)
	v_cmpx_ge_f32_e32 0x41a00000, v21
	s_cbranch_execz .LBB7_16
; %bb.15:
	v_mul_f32_e32 v19, 0x3fb8aa3b, v21
	v_cmp_ngt_f32_e64 s0, 0xc2ce8ed0, v21
	s_delay_alu instid0(VALU_DEP_2) | instskip(SKIP_1) | instid1(VALU_DEP_1)
	v_rndne_f32_e32 v20, v19
	v_fma_f32 v22, 0x3fb8aa3b, v21, -v19
	v_dual_sub_f32 v19, v19, v20 :: v_dual_fmamk_f32 v22, v21, 0x32a5705f, v22
	v_cvt_i32_f32_e32 v20, v20
	s_delay_alu instid0(VALU_DEP_2) | instskip(NEXT) | instid1(VALU_DEP_1)
	v_add_f32_e32 v19, v19, v22
	v_exp_f32_e32 v19, v19
	s_waitcnt_depctr 0xfff
	v_ldexp_f32 v19, v19, v20
	s_delay_alu instid0(VALU_DEP_1) | instskip(SKIP_1) | instid1(VALU_DEP_1)
	v_cndmask_b32_e64 v19, 0, v19, s0
	v_cmp_nlt_f32_e64 s0, 0x42b17218, v21
	v_cndmask_b32_e64 v21, 0x7f800000, v19, s0
	s_delay_alu instid0(VALU_DEP_1) | instskip(SKIP_1) | instid1(VALU_DEP_2)
	v_add_f32_e32 v22, 1.0, v21
	v_cmp_gt_f32_e64 s1, 0x33800000, v21
	v_cvt_f64_f32_e32 v[19:20], v22
	s_delay_alu instid0(VALU_DEP_1) | instskip(SKIP_1) | instid1(VALU_DEP_1)
	v_frexp_exp_i32_f64_e32 v19, v[19:20]
	v_frexp_mant_f32_e32 v20, v22
	v_cmp_gt_f32_e64 s0, 0x3f2aaaab, v20
	v_add_f32_e32 v20, -1.0, v22
	s_delay_alu instid0(VALU_DEP_1) | instskip(NEXT) | instid1(VALU_DEP_3)
	v_sub_f32_e32 v24, v20, v22
	v_subrev_co_ci_u32_e64 v19, s0, 0, v19, s0
	s_mov_b32 s0, 0x3e9b6dac
	s_delay_alu instid0(VALU_DEP_1) | instskip(SKIP_1) | instid1(VALU_DEP_2)
	v_sub_nc_u32_e32 v23, 0, v19
	v_cvt_f32_i32_e32 v19, v19
	v_ldexp_f32 v22, v22, v23
	v_sub_f32_e32 v20, v21, v20
	s_delay_alu instid0(VALU_DEP_2) | instskip(NEXT) | instid1(VALU_DEP_1)
	v_dual_add_f32 v24, 1.0, v24 :: v_dual_add_f32 v25, 1.0, v22
	v_add_f32_e32 v20, v20, v24
	s_delay_alu instid0(VALU_DEP_2) | instskip(NEXT) | instid1(VALU_DEP_2)
	v_add_f32_e32 v24, -1.0, v25
	v_ldexp_f32 v20, v20, v23
	s_delay_alu instid0(VALU_DEP_2) | instskip(NEXT) | instid1(VALU_DEP_1)
	v_dual_add_f32 v23, -1.0, v22 :: v_dual_sub_f32 v24, v22, v24
	v_add_f32_e32 v26, 1.0, v23
	s_delay_alu instid0(VALU_DEP_2) | instskip(NEXT) | instid1(VALU_DEP_2)
	v_add_f32_e32 v24, v20, v24
	v_sub_f32_e32 v22, v22, v26
	s_delay_alu instid0(VALU_DEP_1) | instskip(NEXT) | instid1(VALU_DEP_1)
	v_add_f32_e32 v20, v20, v22
	v_add_f32_e32 v27, v23, v20
	s_delay_alu instid0(VALU_DEP_1) | instskip(NEXT) | instid1(VALU_DEP_1)
	v_dual_sub_f32 v23, v23, v27 :: v_dual_add_f32 v26, v25, v24
	v_add_f32_e32 v20, v20, v23
	s_delay_alu instid0(VALU_DEP_2) | instskip(SKIP_1) | instid1(VALU_DEP_1)
	v_rcp_f32_e32 v22, v26
	v_sub_f32_e32 v25, v25, v26
	v_add_f32_e32 v24, v24, v25
	s_waitcnt_depctr 0xfff
	v_mul_f32_e32 v28, v27, v22
	s_delay_alu instid0(VALU_DEP_1) | instskip(NEXT) | instid1(VALU_DEP_1)
	v_mul_f32_e32 v29, v26, v28
	v_fma_f32 v25, v28, v26, -v29
	s_delay_alu instid0(VALU_DEP_1) | instskip(NEXT) | instid1(VALU_DEP_1)
	v_fmac_f32_e32 v25, v28, v24
	v_add_f32_e32 v30, v29, v25
	s_delay_alu instid0(VALU_DEP_1) | instskip(SKIP_1) | instid1(VALU_DEP_2)
	v_sub_f32_e32 v31, v27, v30
	v_sub_f32_e32 v23, v30, v29
	;; [unrolled: 1-line block ×3, first 2 shown]
	s_delay_alu instid0(VALU_DEP_2) | instskip(NEXT) | instid1(VALU_DEP_2)
	v_sub_f32_e32 v23, v23, v25
	v_sub_f32_e32 v27, v27, v30
	s_delay_alu instid0(VALU_DEP_1) | instskip(NEXT) | instid1(VALU_DEP_1)
	v_add_f32_e32 v20, v20, v27
	v_add_f32_e32 v20, v23, v20
	s_delay_alu instid0(VALU_DEP_1) | instskip(NEXT) | instid1(VALU_DEP_1)
	v_add_f32_e32 v23, v31, v20
	v_mul_f32_e32 v25, v22, v23
	s_delay_alu instid0(VALU_DEP_1) | instskip(NEXT) | instid1(VALU_DEP_1)
	v_dual_sub_f32 v30, v31, v23 :: v_dual_mul_f32 v27, v26, v25
	v_fma_f32 v26, v25, v26, -v27
	s_delay_alu instid0(VALU_DEP_1) | instskip(NEXT) | instid1(VALU_DEP_1)
	v_fmac_f32_e32 v26, v25, v24
	v_add_f32_e32 v24, v27, v26
	s_delay_alu instid0(VALU_DEP_1) | instskip(SKIP_1) | instid1(VALU_DEP_2)
	v_sub_f32_e32 v29, v23, v24
	v_sub_f32_e32 v27, v24, v27
	v_dual_sub_f32 v23, v23, v29 :: v_dual_add_f32 v20, v20, v30
	s_delay_alu instid0(VALU_DEP_1) | instskip(NEXT) | instid1(VALU_DEP_3)
	v_sub_f32_e32 v23, v23, v24
	v_sub_f32_e32 v24, v27, v26
	s_delay_alu instid0(VALU_DEP_2) | instskip(SKIP_1) | instid1(VALU_DEP_2)
	v_add_f32_e32 v20, v20, v23
	v_add_f32_e32 v23, v28, v25
	;; [unrolled: 1-line block ×3, first 2 shown]
	s_delay_alu instid0(VALU_DEP_2) | instskip(NEXT) | instid1(VALU_DEP_2)
	v_sub_f32_e32 v24, v23, v28
	v_add_f32_e32 v20, v29, v20
	s_delay_alu instid0(VALU_DEP_2) | instskip(NEXT) | instid1(VALU_DEP_2)
	v_sub_f32_e32 v24, v25, v24
	v_mul_f32_e32 v20, v22, v20
	s_delay_alu instid0(VALU_DEP_1) | instskip(NEXT) | instid1(VALU_DEP_1)
	v_add_f32_e32 v20, v24, v20
	v_add_f32_e32 v22, v23, v20
	s_delay_alu instid0(VALU_DEP_1) | instskip(NEXT) | instid1(VALU_DEP_1)
	v_mul_f32_e32 v24, v22, v22
	v_fmaak_f32 v25, s0, v24, 0x3ecc95a3
	v_mul_f32_e32 v26, v22, v24
	v_cmp_eq_f32_e64 s0, 0x7f800000, v21
	s_delay_alu instid0(VALU_DEP_3) | instskip(SKIP_2) | instid1(VALU_DEP_4)
	v_fmaak_f32 v24, v24, v25, 0x3f2aaada
	v_ldexp_f32 v25, v22, 1
	v_sub_f32_e32 v22, v22, v23
	s_or_b32 s0, s1, s0
	s_delay_alu instid0(VALU_DEP_3) | instskip(NEXT) | instid1(VALU_DEP_1)
	v_mul_f32_e32 v24, v26, v24
	v_dual_sub_f32 v20, v20, v22 :: v_dual_add_f32 v23, v25, v24
	s_delay_alu instid0(VALU_DEP_1) | instskip(NEXT) | instid1(VALU_DEP_2)
	v_ldexp_f32 v20, v20, 1
	v_sub_f32_e32 v22, v23, v25
	s_delay_alu instid0(VALU_DEP_1) | instskip(NEXT) | instid1(VALU_DEP_1)
	v_sub_f32_e32 v22, v24, v22
	v_add_f32_e32 v20, v20, v22
	s_delay_alu instid0(VALU_DEP_1) | instskip(SKIP_1) | instid1(VALU_DEP_2)
	v_add_f32_e32 v24, v23, v20
	v_mul_f32_e32 v26, 0x3f317218, v19
	v_sub_f32_e32 v23, v24, v23
	s_delay_alu instid0(VALU_DEP_2) | instskip(NEXT) | instid1(VALU_DEP_1)
	v_fma_f32 v25, 0x3f317218, v19, -v26
	v_dual_sub_f32 v20, v20, v23 :: v_dual_fmamk_f32 v19, v19, 0xb102e308, v25
	s_delay_alu instid0(VALU_DEP_1) | instskip(NEXT) | instid1(VALU_DEP_1)
	v_add_f32_e32 v22, v26, v19
	v_add_f32_e32 v25, v22, v24
	v_sub_f32_e32 v26, v22, v26
	s_delay_alu instid0(VALU_DEP_2) | instskip(NEXT) | instid1(VALU_DEP_1)
	v_sub_f32_e32 v27, v25, v22
	v_dual_sub_f32 v19, v19, v26 :: v_dual_sub_f32 v28, v25, v27
	s_delay_alu instid0(VALU_DEP_1) | instskip(NEXT) | instid1(VALU_DEP_2)
	v_dual_sub_f32 v23, v24, v27 :: v_dual_add_f32 v24, v19, v20
	v_sub_f32_e32 v22, v22, v28
	s_delay_alu instid0(VALU_DEP_1) | instskip(NEXT) | instid1(VALU_DEP_1)
	v_dual_add_f32 v22, v23, v22 :: v_dual_sub_f32 v23, v24, v19
	v_add_f32_e32 v22, v24, v22
	s_delay_alu instid0(VALU_DEP_2) | instskip(SKIP_1) | instid1(VALU_DEP_2)
	v_sub_f32_e32 v24, v24, v23
	v_sub_f32_e32 v20, v20, v23
	v_dual_add_f32 v26, v25, v22 :: v_dual_sub_f32 v19, v19, v24
	s_delay_alu instid0(VALU_DEP_1) | instskip(NEXT) | instid1(VALU_DEP_2)
	v_sub_f32_e32 v23, v26, v25
	v_add_f32_e32 v19, v20, v19
	s_delay_alu instid0(VALU_DEP_2) | instskip(NEXT) | instid1(VALU_DEP_1)
	v_sub_f32_e32 v20, v22, v23
	v_add_f32_e32 v19, v19, v20
	s_delay_alu instid0(VALU_DEP_1) | instskip(NEXT) | instid1(VALU_DEP_1)
	v_add_f32_e32 v19, v26, v19
	v_cndmask_b32_e64 v21, v19, v21, s0
.LBB7_16:
	s_or_b32 exec_lo, exec_lo, s4
	v_add_co_u32 v19, s0, v53, s16
	s_delay_alu instid0(VALU_DEP_1) | instskip(NEXT) | instid1(VALU_DEP_3)
	v_add_co_ci_u32_e64 v20, s0, s17, v54, s0
	v_dual_mul_f32 v31, v21, v13 :: v_dual_mov_b32 v32, 0
	v_mul_f32_e32 v56, v21, v14
	global_load_b32 v30, v[19:20], off
	v_mul_f32_e32 v89, v21, v11
	v_mul_f32_e32 v99, 0x3fb8aa3b, v31
	v_dual_mul_f32 v87, v21, v9 :: v_dual_mul_f32 v100, 0x3fb8aa3b, v56
	v_mul_f32_e32 v88, v21, v10
	s_delay_alu instid0(VALU_DEP_4) | instskip(NEXT) | instid1(VALU_DEP_3)
	v_dual_mul_f32 v70, v21, v15 :: v_dual_mul_f32 v105, 0x3fb8aa3b, v89
	v_dual_mul_f32 v103, 0x3fb8aa3b, v87 :: v_dual_mul_f32 v86, v21, v16
	s_delay_alu instid0(VALU_DEP_3)
	v_dual_mul_f32 v91, v21, v5 :: v_dual_mul_f32 v104, 0x3fb8aa3b, v88
	v_mul_f32_e32 v90, v21, v12
	v_rndne_f32_e32 v115, v99
	v_mul_f32_e32 v96, v21, v2
	v_rndne_f32_e32 v123, v103
	v_mul_f32_e32 v98, v21, v4
	ds_load_b128 v[22:25], v32
	ds_load_b128 v[26:29], v32 offset:16
	ds_load_b128 v[51:54], v32 offset:32
	;; [unrolled: 1-line block ×3, first 2 shown]
	v_mul_f32_e32 v101, 0x3fb8aa3b, v70
	v_mul_f32_e32 v102, 0x3fb8aa3b, v86
	ds_load_b128 v[66:69], v32 offset:64
	ds_load_b128 v[74:77], v32 offset:80
	v_mul_f32_e32 v107, 0x3fb8aa3b, v91
	v_dual_mul_f32 v93, v21, v7 :: v_dual_mul_f32 v106, 0x3fb8aa3b, v90
	v_mul_f32_e32 v92, v21, v6
	ds_load_b128 v[78:81], v32 offset:96
	ds_load_b128 v[82:85], v32 offset:112
	v_fma_f32 v114, 0x3fb8aa3b, v31, -v99
	v_mul_f32_e32 v109, 0x3fb8aa3b, v93
	v_fma_f32 v122, 0x3fb8aa3b, v87, -v103
	v_sub_f32_e32 v99, v99, v115
	v_dual_sub_f32 v103, v103, v123 :: v_dual_mul_f32 v32, 0x3fb8aa3b, v96
	v_mul_f32_e32 v113, 0x3fb8aa3b, v98
	v_dual_mul_f32 v95, v21, v1 :: v_dual_mul_f32 v108, 0x3fb8aa3b, v92
	v_fma_f32 v116, 0x3fb8aa3b, v56, -v100
	v_rndne_f32_e32 v117, v100
	v_rndne_f32_e32 v121, v102
	;; [unrolled: 1-line block ×3, first 2 shown]
	v_fmac_f32_e32 v114, 0x32a5705f, v31
	v_dual_mul_f32 v94, v21, v8 :: v_dual_mul_f32 v111, 0x3fb8aa3b, v95
	v_mul_f32_e32 v97, v21, v3
	v_fma_f32 v118, 0x3fb8aa3b, v70, -v101
	v_rndne_f32_e32 v119, v101
	s_delay_alu instid0(VALU_DEP_4)
	v_mul_f32_e32 v110, 0x3fb8aa3b, v94
	v_fma_f32 v120, 0x3fb8aa3b, v86, -v102
	v_rndne_f32_e32 v127, v105
	v_rndne_f32_e32 v131, v107
	v_fma_f32 v132, 0x3fb8aa3b, v92, -v108
	v_fma_f32 v144, 0x3fb8aa3b, v98, -v113
	v_fmac_f32_e32 v116, 0x32a5705f, v56
	v_sub_f32_e32 v100, v100, v117
	v_sub_f32_e32 v113, v113, v145
	v_dual_sub_f32 v102, v102, v121 :: v_dual_add_f32 v99, v99, v114
	v_dual_mul_f32 v112, 0x3fb8aa3b, v97 :: v_dual_sub_f32 v101, v101, v119
	v_fma_f32 v126, 0x3fb8aa3b, v89, -v105
	v_fma_f32 v130, 0x3fb8aa3b, v91, -v107
	v_rndne_f32_e32 v135, v109
	v_dual_fmac_f32 v118, 0x32a5705f, v70 :: v_dual_sub_f32 v105, v105, v127
	v_dual_sub_f32 v107, v107, v131 :: v_dual_fmac_f32 v132, 0x32a5705f, v92
	v_exp_f32_e32 v99, v99
	v_fma_f32 v134, 0x3fb8aa3b, v93, -v109
	v_fma_f32 v138, 0x3fb8aa3b, v95, -v111
	v_rndne_f32_e32 v139, v111
	v_cvt_i32_f32_e32 v115, v115
	v_dual_fmac_f32 v120, 0x32a5705f, v86 :: v_dual_sub_f32 v109, v109, v135
	v_dual_fmac_f32 v122, 0x32a5705f, v87 :: v_dual_add_f32 v101, v101, v118
	v_fma_f32 v124, 0x3fb8aa3b, v88, -v104
	v_rndne_f32_e32 v125, v104
	v_cvt_i32_f32_e32 v117, v117
	v_dual_sub_f32 v111, v111, v139 :: v_dual_add_f32 v102, v102, v120
	v_exp_f32_e32 v101, v101
	v_ldexp_f32 v99, v99, v115
	v_cmp_ngt_f32_e64 s0, 0xc2ce8ed0, v31
	v_cvt_i32_f32_e32 v119, v119
	v_dual_fmac_f32 v124, 0x32a5705f, v88 :: v_dual_add_f32 v103, v103, v122
	v_exp_f32_e32 v102, v102
	s_delay_alu instid0(VALU_DEP_3)
	v_cndmask_b32_e64 v99, 0, v99, s0
	v_cmp_ngt_f32_e64 s0, 0xc2ce8ed0, v56
	v_fma_f32 v128, 0x3fb8aa3b, v90, -v106
	v_rndne_f32_e32 v129, v106
	v_rndne_f32_e32 v133, v108
	v_cvt_i32_f32_e32 v121, v121
	v_exp_f32_e32 v103, v103
	v_ldexp_f32 v101, v101, v119
	v_cvt_i32_f32_e32 v123, v123
	v_fmac_f32_e32 v144, 0x32a5705f, v98
	v_fmac_f32_e32 v128, 0x32a5705f, v90
	v_ldexp_f32 v102, v102, v121
	v_cvt_i32_f32_e32 v127, v127
	v_fma_f32 v136, 0x3fb8aa3b, v94, -v110
	v_add_f32_e32 v113, v113, v144
	v_rndne_f32_e32 v137, v110
	v_ldexp_f32 v103, v103, v123
	v_cvt_i32_f32_e32 v131, v131
	v_fma_f32 v140, 0x3fb8aa3b, v96, -v32
	v_rndne_f32_e32 v141, v32
	v_fma_f32 v142, 0x3fb8aa3b, v97, -v112
	v_rndne_f32_e32 v143, v112
	v_cvt_i32_f32_e32 v135, v135
	v_cvt_i32_f32_e32 v139, v139
	v_exp_f32_e32 v113, v113
	v_cvt_i32_f32_e32 v145, v145
	s_waitcnt_depctr 0xfff
	v_ldexp_f32 v113, v113, v145
	s_waitcnt vmcnt(0)
	v_dual_mul_f32 v21, v21, v30 :: v_dual_add_f32 v100, v100, v116
	v_fmac_f32_e32 v138, 0x32a5705f, v95
	v_sub_f32_e32 v108, v108, v133
	s_waitcnt lgkmcnt(7)
	s_delay_alu instid0(VALU_DEP_3)
	v_dual_fmac_f32 v136, 0x32a5705f, v94 :: v_dual_mul_f32 v25, v21, v25
	v_exp_f32_e32 v100, v100
	s_waitcnt lgkmcnt(6)
	v_dual_mul_f32 v29, v21, v29 :: v_dual_fmac_f32 v130, 0x32a5705f, v91
	v_dual_add_f32 v111, v111, v138 :: v_dual_fmac_f32 v126, 0x32a5705f, v89
	v_dual_mul_f32 v23, v21, v23 :: v_dual_fmac_f32 v134, 0x32a5705f, v93
	s_delay_alu instid0(VALU_DEP_3) | instskip(NEXT) | instid1(VALU_DEP_3)
	v_dual_add_f32 v107, v107, v130 :: v_dual_sub_f32 v104, v104, v125
	v_add_f32_e32 v105, v105, v126
	s_waitcnt_depctr 0xfff
	v_ldexp_f32 v100, v100, v117
	v_dual_sub_f32 v106, v106, v129 :: v_dual_add_f32 v109, v109, v134
	v_add_f32_e32 v104, v104, v124
	v_cvt_i32_f32_e32 v125, v125
	s_delay_alu instid0(VALU_DEP_4)
	v_cndmask_b32_e64 v100, 0, v100, s0
	v_cmp_ngt_f32_e64 s0, 0xc2ce8ed0, v70
	v_add_f32_e32 v106, v106, v128
	v_exp_f32_e32 v104, v104
	v_exp_f32_e32 v105, v105
	v_cvt_i32_f32_e32 v129, v129
	v_cndmask_b32_e64 v101, 0, v101, s0
	v_cmp_ngt_f32_e64 s0, 0xc2ce8ed0, v86
	v_exp_f32_e32 v106, v106
	v_add_f32_e32 v108, v108, v132
	v_exp_f32_e32 v107, v107
	v_sub_f32_e32 v110, v110, v137
	v_cndmask_b32_e64 v102, 0, v102, s0
	v_cmp_ngt_f32_e64 s0, 0xc2ce8ed0, v87
	v_ldexp_f32 v104, v104, v125
	v_ldexp_f32 v105, v105, v127
	v_exp_f32_e32 v108, v108
	v_cvt_i32_f32_e32 v133, v133
	v_cndmask_b32_e64 v103, 0, v103, s0
	v_cmp_ngt_f32_e64 s0, 0xc2ce8ed0, v88
	v_ldexp_f32 v106, v106, v129
	v_add_f32_e32 v110, v110, v136
	v_exp_f32_e32 v109, v109
	v_ldexp_f32 v107, v107, v131
	v_cndmask_b32_e64 v104, 0, v104, s0
	v_cmp_ngt_f32_e64 s0, 0xc2ce8ed0, v89
	v_dual_fmac_f32 v140, 0x32a5705f, v96 :: v_dual_mul_f32 v27, v21, v27
	v_sub_f32_e32 v32, v32, v141
	v_exp_f32_e32 v110, v110
	s_delay_alu instid0(VALU_DEP_3)
	v_cndmask_b32_e64 v105, 0, v105, s0
	v_cmp_ngt_f32_e64 s0, 0xc2ce8ed0, v90
	v_ldexp_f32 v108, v108, v133
	v_cvt_i32_f32_e32 v137, v137
	v_fmac_f32_e32 v142, 0x32a5705f, v97
	v_sub_f32_e32 v112, v112, v143
	v_cndmask_b32_e64 v106, 0, v106, s0
	v_cmp_ngt_f32_e64 s0, 0xc2ce8ed0, v91
	v_add_f32_e32 v32, v32, v140
	v_exp_f32_e32 v111, v111
	v_ldexp_f32 v109, v109, v135
	v_add_f32_e32 v112, v112, v142
	v_cndmask_b32_e64 v107, 0, v107, s0
	v_cmp_ngt_f32_e64 s0, 0xc2ce8ed0, v92
	v_exp_f32_e32 v32, v32
	v_ldexp_f32 v110, v110, v137
	v_cvt_i32_f32_e32 v141, v141
	v_exp_f32_e32 v112, v112
	v_cndmask_b32_e64 v108, 0, v108, s0
	v_cmp_ngt_f32_e64 s0, 0xc2ce8ed0, v93
	v_ldexp_f32 v111, v111, v139
	v_cvt_i32_f32_e32 v143, v143
	v_mul_f32_e32 v22, v21, v22
	v_mul_f32_e32 v24, v21, v24
	v_cndmask_b32_e64 v109, 0, v109, s0
	v_cmp_ngt_f32_e64 s0, 0xc2ce8ed0, v94
	v_ldexp_f32 v32, v32, v141
	v_ldexp_f32 v112, v112, v143
	v_mul_f32_e32 v26, v21, v26
	v_mul_f32_e32 v28, v21, v28
	v_cndmask_b32_e64 v110, 0, v110, s0
	v_cmp_ngt_f32_e64 s0, 0xc2ce8ed0, v95
	s_delay_alu instid0(VALU_DEP_1) | instskip(SKIP_1) | instid1(VALU_DEP_1)
	v_cndmask_b32_e64 v111, 0, v111, s0
	v_cmp_ngt_f32_e64 s0, 0xc2ce8ed0, v96
	v_cndmask_b32_e64 v114, 0, v32, s0
	v_cmp_ngt_f32_e64 s0, 0xc2ce8ed0, v97
	s_delay_alu instid0(VALU_DEP_1) | instskip(SKIP_1) | instid1(VALU_DEP_1)
	v_cndmask_b32_e64 v112, 0, v112, s0
	v_cmp_nlt_f32_e64 s0, 0x42b17218, v31
	v_cndmask_b32_e64 v30, 0x7f800000, v99, s0
	v_cmp_ngt_f32_e64 s0, 0xc2ce8ed0, v98
	s_delay_alu instid0(VALU_DEP_2) | instskip(NEXT) | instid1(VALU_DEP_2)
	v_fmac_f32_e32 v22, v72, v30
	v_cndmask_b32_e64 v99, 0, v113, s0
	v_cmp_nlt_f32_e64 s0, 0x42b17218, v56
	s_waitcnt lgkmcnt(3)
	s_delay_alu instid0(VALU_DEP_3) | instskip(NEXT) | instid1(VALU_DEP_2)
	v_fma_f32 v56, v66, v22, 0
	v_cndmask_b32_e64 v31, 0x7f800000, v100, s0
	v_cmp_nlt_f32_e64 s0, 0x42b17218, v70
	s_delay_alu instid0(VALU_DEP_2) | instskip(NEXT) | instid1(VALU_DEP_2)
	v_fmac_f32_e32 v23, v73, v31
	v_cndmask_b32_e64 v30, 0x7f800000, v101, s0
	v_cmp_nlt_f32_e64 s0, 0x42b17218, v86
	s_delay_alu instid0(VALU_DEP_3) | instskip(NEXT) | instid1(VALU_DEP_3)
	v_fmac_f32_e32 v56, v67, v23
	v_fmac_f32_e32 v24, v57, v30
	s_delay_alu instid0(VALU_DEP_3) | instskip(SKIP_1) | instid1(VALU_DEP_2)
	v_cndmask_b32_e64 v31, 0x7f800000, v102, s0
	v_cmp_nlt_f32_e64 s0, 0x42b17218, v87
	v_dual_fmac_f32 v56, v68, v24 :: v_dual_fmac_f32 v25, v71, v31
	s_delay_alu instid0(VALU_DEP_2) | instskip(SKIP_1) | instid1(VALU_DEP_3)
	v_cndmask_b32_e64 v30, 0x7f800000, v103, s0
	v_cmp_nlt_f32_e64 s0, 0x42b17218, v88
	v_fmac_f32_e32 v56, v69, v25
	s_delay_alu instid0(VALU_DEP_3) | instskip(NEXT) | instid1(VALU_DEP_3)
	v_fmac_f32_e32 v26, v37, v30
	v_cndmask_b32_e64 v31, 0x7f800000, v104, s0
	v_cmp_nlt_f32_e64 s0, 0x42b17218, v89
	s_waitcnt lgkmcnt(2)
	s_delay_alu instid0(VALU_DEP_3) | instskip(NEXT) | instid1(VALU_DEP_3)
	v_fmac_f32_e32 v56, v74, v26
	v_fmac_f32_e32 v27, v38, v31
	s_delay_alu instid0(VALU_DEP_3) | instskip(SKIP_1) | instid1(VALU_DEP_3)
	v_cndmask_b32_e64 v30, 0x7f800000, v105, s0
	v_cmp_nlt_f32_e64 s0, 0x42b17218, v90
	v_fmac_f32_e32 v56, v75, v27
	s_delay_alu instid0(VALU_DEP_3) | instskip(NEXT) | instid1(VALU_DEP_3)
	v_fmac_f32_e32 v28, v39, v30
	v_cndmask_b32_e64 v31, 0x7f800000, v106, s0
	v_cmp_nlt_f32_e64 s0, 0x42b17218, v91
	v_mul_f32_e32 v30, v21, v51
	s_delay_alu instid0(VALU_DEP_3) | instskip(SKIP_1) | instid1(VALU_DEP_4)
	v_dual_fmac_f32 v56, v76, v28 :: v_dual_fmac_f32 v29, v33, v31
	v_mul_f32_e32 v31, v21, v52
	v_cndmask_b32_e64 v32, 0x7f800000, v107, s0
	v_cmp_nlt_f32_e64 s0, 0x42b17218, v92
	s_delay_alu instid0(VALU_DEP_4) | instskip(NEXT) | instid1(VALU_DEP_3)
	v_fmac_f32_e32 v56, v77, v29
	v_fmac_f32_e32 v30, v34, v32
	s_delay_alu instid0(VALU_DEP_3) | instskip(SKIP_3) | instid1(VALU_DEP_3)
	v_cndmask_b32_e64 v33, 0x7f800000, v108, s0
	v_cmp_nlt_f32_e64 s0, 0x42b17218, v93
	v_mul_f32_e32 v32, v21, v53
	s_waitcnt lgkmcnt(1)
	v_dual_fmac_f32 v56, v78, v30 :: v_dual_fmac_f32 v31, v35, v33
	s_delay_alu instid0(VALU_DEP_3) | instskip(SKIP_1) | instid1(VALU_DEP_3)
	v_cndmask_b32_e64 v34, 0x7f800000, v109, s0
	v_cmp_nlt_f32_e64 s0, 0x42b17218, v94
	v_dual_mul_f32 v33, v21, v54 :: v_dual_fmac_f32 v56, v79, v31
	s_delay_alu instid0(VALU_DEP_3) | instskip(NEXT) | instid1(VALU_DEP_3)
	v_fmac_f32_e32 v32, v36, v34
	v_cndmask_b32_e64 v35, 0x7f800000, v110, s0
	v_cmp_nlt_f32_e64 s0, 0x42b17218, v95
	v_mul_f32_e32 v34, v21, v62
	s_delay_alu instid0(VALU_DEP_4) | instskip(NEXT) | instid1(VALU_DEP_4)
	v_fmac_f32_e32 v56, v80, v32
	v_fmac_f32_e32 v33, v40, v35
	s_delay_alu instid0(VALU_DEP_4) | instskip(SKIP_2) | instid1(VALU_DEP_4)
	v_cndmask_b32_e64 v36, 0x7f800000, v111, s0
	v_cmp_nlt_f32_e64 s0, 0x42b17218, v96
	v_mul_f32_e32 v35, v21, v63
	v_fmac_f32_e32 v56, v81, v33
	s_delay_alu instid0(VALU_DEP_4) | instskip(NEXT) | instid1(VALU_DEP_4)
	v_fmac_f32_e32 v34, v58, v36
	v_cndmask_b32_e64 v37, 0x7f800000, v114, s0
	v_cmp_nlt_f32_e64 s0, 0x42b17218, v97
	v_mul_f32_e32 v36, v21, v64
	s_waitcnt lgkmcnt(0)
	v_dual_mul_f32 v21, v21, v65 :: v_dual_fmac_f32 v56, v82, v34
	v_fmac_f32_e32 v35, v59, v37
	v_cndmask_b32_e64 v38, 0x7f800000, v112, s0
	v_cmp_nlt_f32_e64 s0, 0x42b17218, v98
	s_delay_alu instid0(VALU_DEP_3) | instskip(NEXT) | instid1(VALU_DEP_3)
	v_fmac_f32_e32 v56, v83, v35
	v_fmac_f32_e32 v36, v60, v38
	s_delay_alu instid0(VALU_DEP_3) | instskip(NEXT) | instid1(VALU_DEP_1)
	v_cndmask_b32_e64 v37, 0x7f800000, v99, s0
	v_dual_fmac_f32 v56, v84, v36 :: v_dual_fmac_f32 v21, v61, v37
	v_mad_i64_i32 v[37:38], null, s12, 12, v[47:48]
	s_delay_alu instid0(VALU_DEP_2)
	v_fmac_f32_e32 v56, v85, v21
	global_store_b32 v[37:38], v56, off
	s_waitcnt_vscnt null, 0x0
	s_barrier
	buffer_gl0_inv
	s_and_saveexec_b32 s1, vcc_lo
	s_cbranch_execz .LBB7_18
; %bb.17:
	s_lshl_b64 s[22:23], s[2:3], 4
	s_delay_alu instid0(SALU_CYCLE_1) | instskip(NEXT) | instid1(VALU_DEP_1)
	v_add_co_u32 v37, s0, v43, s22
	v_add_co_ci_u32_e64 v38, s0, s23, v44, s0
	s_lshl_b64 s[22:23], s[10:11], 4
	s_delay_alu instid0(SALU_CYCLE_1) | instskip(NEXT) | instid1(VALU_DEP_1)
	v_add_co_u32 v39, s0, v45, s22
	v_add_co_ci_u32_e64 v40, s0, s23, v46, s0
	global_load_b32 v37, v[37:38], off
	global_load_b32 v38, v[39:40], off
	s_waitcnt vmcnt(1)
	ds_store_b32 v55, v37
	s_waitcnt vmcnt(0)
	ds_store_b32 v0, v38
.LBB7_18:
	s_or_b32 exec_lo, exec_lo, s1
	v_add_co_u32 v17, s0, v17, s8
	s_delay_alu instid0(VALU_DEP_1)
	v_add_co_ci_u32_e64 v18, s0, s9, v18, s0
	s_waitcnt lgkmcnt(0)
	s_barrier
	buffer_gl0_inv
	global_load_b32 v37, v[17:18], off
	s_mov_b32 s3, exec_lo
	s_waitcnt vmcnt(0)
	v_cmpx_ge_f32_e32 0x41a00000, v37
	s_cbranch_execz .LBB7_20
; %bb.19:
	v_mul_f32_e32 v38, 0x3fb8aa3b, v37
	v_cmp_ngt_f32_e64 s0, 0xc2ce8ed0, v37
	s_delay_alu instid0(VALU_DEP_2) | instskip(SKIP_1) | instid1(VALU_DEP_2)
	v_rndne_f32_e32 v39, v38
	v_fma_f32 v40, 0x3fb8aa3b, v37, -v38
	v_sub_f32_e32 v38, v38, v39
	s_delay_alu instid0(VALU_DEP_2) | instskip(SKIP_1) | instid1(VALU_DEP_2)
	v_fmamk_f32 v40, v37, 0x32a5705f, v40
	v_cvt_i32_f32_e32 v39, v39
	v_add_f32_e32 v38, v38, v40
	s_delay_alu instid0(VALU_DEP_1) | instskip(SKIP_2) | instid1(VALU_DEP_1)
	v_exp_f32_e32 v38, v38
	s_waitcnt_depctr 0xfff
	v_ldexp_f32 v38, v38, v39
	v_cndmask_b32_e64 v38, 0, v38, s0
	v_cmp_nlt_f32_e64 s0, 0x42b17218, v37
	s_delay_alu instid0(VALU_DEP_1) | instskip(NEXT) | instid1(VALU_DEP_1)
	v_cndmask_b32_e64 v39, 0x7f800000, v38, s0
	v_add_f32_e32 v40, 1.0, v39
	v_cmp_gt_f32_e64 s1, 0x33800000, v39
	s_delay_alu instid0(VALU_DEP_2) | instskip(NEXT) | instid1(VALU_DEP_1)
	v_cvt_f64_f32_e32 v[37:38], v40
	v_frexp_exp_i32_f64_e32 v37, v[37:38]
	v_frexp_mant_f32_e32 v38, v40
	s_delay_alu instid0(VALU_DEP_1) | instskip(SKIP_1) | instid1(VALU_DEP_1)
	v_cmp_gt_f32_e64 s0, 0x3f2aaaab, v38
	v_add_f32_e32 v38, -1.0, v40
	v_sub_f32_e32 v52, v38, v40
	v_sub_f32_e32 v38, v39, v38
	s_delay_alu instid0(VALU_DEP_2) | instskip(NEXT) | instid1(VALU_DEP_1)
	v_add_f32_e32 v52, 1.0, v52
	v_add_f32_e32 v38, v38, v52
	v_subrev_co_ci_u32_e64 v37, s0, 0, v37, s0
	s_mov_b32 s0, 0x3e9b6dac
	s_delay_alu instid0(VALU_DEP_1) | instskip(SKIP_1) | instid1(VALU_DEP_2)
	v_sub_nc_u32_e32 v51, 0, v37
	v_cvt_f32_i32_e32 v37, v37
	v_ldexp_f32 v40, v40, v51
	v_ldexp_f32 v38, v38, v51
	s_delay_alu instid0(VALU_DEP_2) | instskip(NEXT) | instid1(VALU_DEP_1)
	v_add_f32_e32 v53, 1.0, v40
	v_dual_add_f32 v51, -1.0, v40 :: v_dual_add_f32 v52, -1.0, v53
	s_delay_alu instid0(VALU_DEP_1) | instskip(NEXT) | instid1(VALU_DEP_2)
	v_add_f32_e32 v54, 1.0, v51
	v_sub_f32_e32 v52, v40, v52
	s_delay_alu instid0(VALU_DEP_2) | instskip(NEXT) | instid1(VALU_DEP_2)
	v_sub_f32_e32 v40, v40, v54
	v_add_f32_e32 v52, v38, v52
	s_delay_alu instid0(VALU_DEP_2) | instskip(NEXT) | instid1(VALU_DEP_2)
	v_add_f32_e32 v38, v38, v40
	v_add_f32_e32 v54, v53, v52
	s_delay_alu instid0(VALU_DEP_2) | instskip(NEXT) | instid1(VALU_DEP_2)
	v_add_f32_e32 v56, v51, v38
	v_rcp_f32_e32 v40, v54
	v_sub_f32_e32 v53, v53, v54
	s_delay_alu instid0(VALU_DEP_1) | instskip(SKIP_2) | instid1(VALU_DEP_1)
	v_dual_sub_f32 v51, v51, v56 :: v_dual_add_f32 v52, v52, v53
	s_waitcnt_depctr 0xfff
	v_dual_add_f32 v38, v38, v51 :: v_dual_mul_f32 v57, v56, v40
	v_mul_f32_e32 v58, v54, v57
	s_delay_alu instid0(VALU_DEP_1) | instskip(NEXT) | instid1(VALU_DEP_1)
	v_fma_f32 v53, v57, v54, -v58
	v_fmac_f32_e32 v53, v57, v52
	s_delay_alu instid0(VALU_DEP_1) | instskip(NEXT) | instid1(VALU_DEP_1)
	v_add_f32_e32 v59, v58, v53
	v_dual_sub_f32 v60, v56, v59 :: v_dual_sub_f32 v51, v59, v58
	s_delay_alu instid0(VALU_DEP_1) | instskip(NEXT) | instid1(VALU_DEP_1)
	v_dual_sub_f32 v56, v56, v60 :: v_dual_sub_f32 v51, v51, v53
	v_sub_f32_e32 v56, v56, v59
	s_delay_alu instid0(VALU_DEP_1) | instskip(NEXT) | instid1(VALU_DEP_1)
	v_add_f32_e32 v38, v38, v56
	v_add_f32_e32 v38, v51, v38
	s_delay_alu instid0(VALU_DEP_1) | instskip(NEXT) | instid1(VALU_DEP_1)
	v_add_f32_e32 v51, v60, v38
	v_mul_f32_e32 v53, v40, v51
	s_delay_alu instid0(VALU_DEP_1) | instskip(NEXT) | instid1(VALU_DEP_1)
	v_dual_sub_f32 v59, v60, v51 :: v_dual_mul_f32 v56, v54, v53
	v_add_f32_e32 v38, v38, v59
	s_delay_alu instid0(VALU_DEP_2) | instskip(NEXT) | instid1(VALU_DEP_1)
	v_fma_f32 v54, v53, v54, -v56
	v_fmac_f32_e32 v54, v53, v52
	s_delay_alu instid0(VALU_DEP_1) | instskip(NEXT) | instid1(VALU_DEP_1)
	v_add_f32_e32 v52, v56, v54
	v_sub_f32_e32 v58, v51, v52
	s_delay_alu instid0(VALU_DEP_1) | instskip(NEXT) | instid1(VALU_DEP_1)
	v_dual_sub_f32 v56, v52, v56 :: v_dual_sub_f32 v51, v51, v58
	v_dual_sub_f32 v51, v51, v52 :: v_dual_sub_f32 v52, v56, v54
	s_delay_alu instid0(VALU_DEP_1) | instskip(NEXT) | instid1(VALU_DEP_1)
	v_dual_add_f32 v38, v38, v51 :: v_dual_add_f32 v51, v57, v53
	v_add_f32_e32 v38, v52, v38
	s_delay_alu instid0(VALU_DEP_2) | instskip(NEXT) | instid1(VALU_DEP_2)
	v_sub_f32_e32 v52, v51, v57
	v_add_f32_e32 v38, v58, v38
	s_delay_alu instid0(VALU_DEP_2) | instskip(NEXT) | instid1(VALU_DEP_2)
	v_sub_f32_e32 v52, v53, v52
	v_mul_f32_e32 v38, v40, v38
	s_delay_alu instid0(VALU_DEP_1) | instskip(NEXT) | instid1(VALU_DEP_1)
	v_add_f32_e32 v38, v52, v38
	v_add_f32_e32 v40, v51, v38
	s_delay_alu instid0(VALU_DEP_1) | instskip(NEXT) | instid1(VALU_DEP_1)
	v_mul_f32_e32 v52, v40, v40
	v_fmaak_f32 v53, s0, v52, 0x3ecc95a3
	v_mul_f32_e32 v54, v40, v52
	v_cmp_eq_f32_e64 s0, 0x7f800000, v39
	s_delay_alu instid0(VALU_DEP_3) | instskip(SKIP_2) | instid1(VALU_DEP_4)
	v_fmaak_f32 v52, v52, v53, 0x3f2aaada
	v_ldexp_f32 v53, v40, 1
	v_sub_f32_e32 v40, v40, v51
	s_or_b32 s0, s1, s0
	s_delay_alu instid0(VALU_DEP_3) | instskip(SKIP_1) | instid1(VALU_DEP_3)
	v_mul_f32_e32 v52, v54, v52
	v_mul_f32_e32 v54, 0x3f317218, v37
	v_sub_f32_e32 v38, v38, v40
	s_delay_alu instid0(VALU_DEP_3) | instskip(NEXT) | instid1(VALU_DEP_2)
	v_add_f32_e32 v51, v53, v52
	v_ldexp_f32 v38, v38, 1
	s_delay_alu instid0(VALU_DEP_2) | instskip(SKIP_1) | instid1(VALU_DEP_1)
	v_sub_f32_e32 v40, v51, v53
	v_fma_f32 v53, 0x3f317218, v37, -v54
	v_dual_sub_f32 v40, v52, v40 :: v_dual_fmamk_f32 v37, v37, 0xb102e308, v53
	s_delay_alu instid0(VALU_DEP_1) | instskip(NEXT) | instid1(VALU_DEP_2)
	v_add_f32_e32 v38, v38, v40
	v_add_f32_e32 v40, v54, v37
	s_delay_alu instid0(VALU_DEP_2) | instskip(NEXT) | instid1(VALU_DEP_2)
	v_add_f32_e32 v52, v51, v38
	v_sub_f32_e32 v54, v40, v54
	s_delay_alu instid0(VALU_DEP_2) | instskip(SKIP_1) | instid1(VALU_DEP_3)
	v_add_f32_e32 v53, v40, v52
	v_sub_f32_e32 v51, v52, v51
	v_sub_f32_e32 v37, v37, v54
	s_delay_alu instid0(VALU_DEP_3) | instskip(NEXT) | instid1(VALU_DEP_1)
	v_sub_f32_e32 v56, v53, v40
	v_dual_sub_f32 v38, v38, v51 :: v_dual_sub_f32 v57, v53, v56
	s_delay_alu instid0(VALU_DEP_1) | instskip(NEXT) | instid1(VALU_DEP_2)
	v_dual_sub_f32 v51, v52, v56 :: v_dual_add_f32 v52, v37, v38
	v_sub_f32_e32 v40, v40, v57
	s_delay_alu instid0(VALU_DEP_1) | instskip(NEXT) | instid1(VALU_DEP_1)
	v_dual_add_f32 v40, v51, v40 :: v_dual_sub_f32 v51, v52, v37
	v_add_f32_e32 v40, v52, v40
	s_delay_alu instid0(VALU_DEP_2) | instskip(SKIP_1) | instid1(VALU_DEP_3)
	v_sub_f32_e32 v52, v52, v51
	v_sub_f32_e32 v38, v38, v51
	v_add_f32_e32 v54, v53, v40
	s_delay_alu instid0(VALU_DEP_3) | instskip(NEXT) | instid1(VALU_DEP_2)
	v_sub_f32_e32 v37, v37, v52
	v_sub_f32_e32 v51, v54, v53
	s_delay_alu instid0(VALU_DEP_1) | instskip(NEXT) | instid1(VALU_DEP_1)
	v_dual_add_f32 v37, v38, v37 :: v_dual_sub_f32 v38, v40, v51
	v_add_f32_e32 v37, v37, v38
	s_delay_alu instid0(VALU_DEP_1) | instskip(NEXT) | instid1(VALU_DEP_1)
	v_add_f32_e32 v37, v54, v37
	v_cndmask_b32_e64 v37, v37, v39, s0
.LBB7_20:
	s_or_b32 exec_lo, exec_lo, s3
	v_add_co_u32 v19, s0, v19, s16
	s_delay_alu instid0(VALU_DEP_1) | instskip(NEXT) | instid1(VALU_DEP_3)
	v_add_co_ci_u32_e64 v20, s0, s17, v20, s0
	v_dual_mov_b32 v38, 0 :: v_dual_mul_f32 v39, v37, v14
	v_mul_f32_e32 v40, v37, v15
	global_load_b32 v19, v[19:20], off
	v_mul_f32_e32 v85, v37, v9
	v_mul_f32_e32 v20, v37, v13
	v_dual_mul_f32 v98, 0x3fb8aa3b, v39 :: v_dual_mul_f32 v99, 0x3fb8aa3b, v40
	s_delay_alu instid0(VALU_DEP_3) | instskip(SKIP_1) | instid1(VALU_DEP_4)
	v_dual_mul_f32 v84, v37, v16 :: v_dual_mul_f32 v101, 0x3fb8aa3b, v85
	v_mul_f32_e32 v87, v37, v11
	v_mul_f32_e32 v97, 0x3fb8aa3b, v20
	s_delay_alu instid0(VALU_DEP_4) | instskip(NEXT) | instid1(VALU_DEP_4)
	v_rndne_f32_e32 v117, v99
	v_mul_f32_e32 v100, 0x3fb8aa3b, v84
	s_delay_alu instid0(VALU_DEP_4) | instskip(SKIP_3) | instid1(VALU_DEP_4)
	v_dual_mul_f32 v86, v37, v10 :: v_dual_mul_f32 v103, 0x3fb8aa3b, v87
	v_mul_f32_e32 v89, v37, v5
	v_mul_f32_e32 v96, v37, v4
	v_fma_f32 v112, 0x3fb8aa3b, v20, -v97
	v_mul_f32_e32 v102, 0x3fb8aa3b, v86
	s_delay_alu instid0(VALU_DEP_4) | instskip(SKIP_3) | instid1(VALU_DEP_4)
	v_dual_mul_f32 v88, v37, v12 :: v_dual_mul_f32 v105, 0x3fb8aa3b, v89
	v_mul_f32_e32 v91, v37, v7
	v_rndne_f32_e32 v113, v97
	v_fma_f32 v116, 0x3fb8aa3b, v40, -v99
	v_dual_mul_f32 v104, 0x3fb8aa3b, v88 :: v_dual_sub_f32 v99, v99, v117
	v_dual_mul_f32 v94, v37, v2 :: v_dual_mul_f32 v111, 0x3fb8aa3b, v96
	v_dual_mul_f32 v90, v37, v6 :: v_dual_mul_f32 v107, 0x3fb8aa3b, v91
	v_mul_f32_e32 v93, v37, v1
	ds_load_b128 v[51:54], v38
	ds_load_b128 v[56:59], v38 offset:16
	ds_load_b128 v[60:63], v38 offset:32
	;; [unrolled: 1-line block ×5, first 2 shown]
	v_mul_f32_e32 v106, 0x3fb8aa3b, v90
	ds_load_b128 v[76:79], v38 offset:96
	ds_load_b128 v[80:83], v38 offset:112
	v_dual_mul_f32 v38, 0x3fb8aa3b, v94 :: v_dual_sub_f32 v97, v97, v113
	v_fma_f32 v114, 0x3fb8aa3b, v39, -v98
	v_rndne_f32_e32 v115, v98
	v_rndne_f32_e32 v119, v100
	;; [unrolled: 1-line block ×3, first 2 shown]
	v_fmac_f32_e32 v112, 0x32a5705f, v20
	v_dual_mul_f32 v92, v37, v8 :: v_dual_mul_f32 v109, 0x3fb8aa3b, v93
	v_fma_f32 v118, 0x3fb8aa3b, v84, -v100
	v_fma_f32 v124, 0x3fb8aa3b, v87, -v103
	v_rndne_f32_e32 v129, v105
	v_rndne_f32_e32 v133, v107
	v_fmac_f32_e32 v114, 0x32a5705f, v39
	v_dual_sub_f32 v98, v98, v115 :: v_dual_sub_f32 v103, v103, v125
	v_dual_sub_f32 v100, v100, v119 :: v_dual_add_f32 v97, v97, v112
	v_fma_f32 v120, 0x3fb8aa3b, v85, -v101
	v_fma_f32 v128, 0x3fb8aa3b, v89, -v105
	;; [unrolled: 1-line block ×3, first 2 shown]
	v_rndne_f32_e32 v137, v109
	v_dual_fmac_f32 v116, 0x32a5705f, v40 :: v_dual_sub_f32 v105, v105, v129
	v_dual_sub_f32 v107, v107, v133 :: v_dual_add_f32 v98, v98, v114
	v_exp_f32_e32 v97, v97
	v_dual_mul_f32 v95, v37, v3 :: v_dual_mul_f32 v108, 0x3fb8aa3b, v92
	v_rndne_f32_e32 v121, v101
	v_fma_f32 v136, 0x3fb8aa3b, v93, -v109
	v_rndne_f32_e32 v143, v111
	v_cvt_i32_f32_e32 v113, v113
	v_dual_fmac_f32 v118, 0x32a5705f, v84 :: v_dual_sub_f32 v109, v109, v137
	v_dual_fmac_f32 v120, 0x32a5705f, v85 :: v_dual_add_f32 v99, v99, v116
	v_exp_f32_e32 v98, v98
	v_dual_mul_f32 v110, 0x3fb8aa3b, v95 :: v_dual_sub_f32 v101, v101, v121
	v_fma_f32 v122, 0x3fb8aa3b, v86, -v102
	v_rndne_f32_e32 v123, v102
	v_fma_f32 v142, 0x3fb8aa3b, v96, -v111
	v_cvt_i32_f32_e32 v115, v115
	v_fmac_f32_e32 v136, 0x32a5705f, v93
	v_dual_fmac_f32 v128, 0x32a5705f, v89 :: v_dual_sub_f32 v111, v111, v143
	v_add_f32_e32 v100, v100, v118
	v_exp_f32_e32 v99, v99
	v_ldexp_f32 v97, v97, v113
	v_cmp_ngt_f32_e64 s0, 0xc2ce8ed0, v20
	v_cvt_i32_f32_e32 v117, v117
	v_dual_fmac_f32 v122, 0x32a5705f, v86 :: v_dual_add_f32 v101, v101, v120
	v_dual_add_f32 v109, v109, v136 :: v_dual_fmac_f32 v124, 0x32a5705f, v87
	v_dual_add_f32 v105, v105, v128 :: v_dual_sub_f32 v102, v102, v123
	v_exp_f32_e32 v100, v100
	v_ldexp_f32 v98, v98, v115
	s_delay_alu instid0(VALU_DEP_3)
	v_add_f32_e32 v103, v103, v124
	v_cndmask_b32_e64 v97, 0, v97, s0
	v_cmp_ngt_f32_e64 s0, 0xc2ce8ed0, v39
	v_fma_f32 v126, 0x3fb8aa3b, v88, -v104
	v_rndne_f32_e32 v127, v104
	v_fma_f32 v130, 0x3fb8aa3b, v90, -v106
	v_cvt_i32_f32_e32 v119, v119
	v_add_f32_e32 v102, v102, v122
	v_exp_f32_e32 v101, v101
	v_ldexp_f32 v99, v99, v117
	v_cndmask_b32_e64 v98, 0, v98, s0
	v_cmp_ngt_f32_e64 s0, 0xc2ce8ed0, v40
	v_cvt_i32_f32_e32 v121, v121
	v_fmac_f32_e32 v130, 0x32a5705f, v90
	v_exp_f32_e32 v102, v102
	v_ldexp_f32 v100, v100, v119
	v_cndmask_b32_e64 v99, 0, v99, s0
	v_cmp_ngt_f32_e64 s0, 0xc2ce8ed0, v84
	v_rndne_f32_e32 v131, v106
	v_cvt_i32_f32_e32 v123, v123
	v_exp_f32_e32 v103, v103
	v_ldexp_f32 v101, v101, v121
	v_cndmask_b32_e64 v100, 0, v100, s0
	v_cmp_ngt_f32_e64 s0, 0xc2ce8ed0, v85
	v_cvt_i32_f32_e32 v125, v125
	v_ldexp_f32 v102, v102, v123
	v_fma_f32 v134, 0x3fb8aa3b, v92, -v108
	v_rndne_f32_e32 v135, v108
	v_cndmask_b32_e64 v101, 0, v101, s0
	v_cmp_ngt_f32_e64 s0, 0xc2ce8ed0, v86
	v_exp_f32_e32 v105, v105
	v_ldexp_f32 v103, v103, v125
	v_cvt_i32_f32_e32 v129, v129
	v_sub_f32_e32 v108, v108, v135
	v_cndmask_b32_e64 v102, 0, v102, s0
	v_cmp_ngt_f32_e64 s0, 0xc2ce8ed0, v87
	v_fma_f32 v138, 0x3fb8aa3b, v94, -v38
	v_rndne_f32_e32 v139, v38
	v_fma_f32 v140, 0x3fb8aa3b, v95, -v110
	v_rndne_f32_e32 v141, v110
	v_cndmask_b32_e64 v103, 0, v103, s0
	v_cmp_ngt_f32_e64 s0, 0xc2ce8ed0, v88
	v_ldexp_f32 v105, v105, v129
	v_cvt_i32_f32_e32 v133, v133
	v_sub_f32_e32 v38, v38, v139
	v_cvt_i32_f32_e32 v135, v135
	v_fmac_f32_e32 v140, 0x32a5705f, v95
	v_sub_f32_e32 v110, v110, v141
	v_exp_f32_e32 v109, v109
	v_cvt_i32_f32_e32 v137, v137
	v_cvt_i32_f32_e32 v139, v139
	;; [unrolled: 1-line block ×4, first 2 shown]
	s_waitcnt_depctr 0xfff
	v_ldexp_f32 v109, v109, v137
	s_waitcnt vmcnt(0)
	v_mul_f32_e32 v19, v37, v19
	v_fmac_f32_e32 v132, 0x32a5705f, v91
	v_sub_f32_e32 v104, v104, v127
	v_fmac_f32_e32 v142, 0x32a5705f, v96
	v_fmac_f32_e32 v126, 0x32a5705f, v88
	s_waitcnt lgkmcnt(7)
	v_dual_sub_f32 v106, v106, v131 :: v_dual_mul_f32 v37, v19, v52
	v_add_f32_e32 v107, v107, v132
	v_add_f32_e32 v111, v111, v142
	;; [unrolled: 1-line block ×3, first 2 shown]
	v_cvt_i32_f32_e32 v127, v127
	v_add_f32_e32 v106, v106, v130
	v_fmac_f32_e32 v134, 0x32a5705f, v92
	v_cvt_i32_f32_e32 v131, v131
	v_exp_f32_e32 v104, v104
	v_exp_f32_e32 v107, v107
	;; [unrolled: 1-line block ×3, first 2 shown]
	v_add_f32_e32 v108, v108, v134
	v_fmac_f32_e32 v138, 0x32a5705f, v94
	v_add_f32_e32 v110, v110, v140
	v_exp_f32_e32 v111, v111
	s_delay_alu instid0(VALU_DEP_3) | instskip(NEXT) | instid1(VALU_DEP_2)
	v_exp_f32_e32 v108, v108
	v_add_f32_e32 v38, v38, v138
	v_ldexp_f32 v104, v104, v127
	v_ldexp_f32 v107, v107, v133
	s_delay_alu instid0(TRANS32_DEP_3)
	v_ldexp_f32 v106, v106, v131
	v_exp_f32_e32 v110, v110
	v_exp_f32_e32 v38, v38
	v_cndmask_b32_e64 v104, 0, v104, s0
	v_cmp_ngt_f32_e64 s0, 0xc2ce8ed0, v89
	v_ldexp_f32 v111, v111, v143
	v_ldexp_f32 v108, v108, v135
	s_delay_alu instid0(VALU_DEP_3) | instskip(SKIP_1) | instid1(TRANS32_DEP_2)
	v_cndmask_b32_e64 v105, 0, v105, s0
	v_cmp_ngt_f32_e64 s0, 0xc2ce8ed0, v90
	v_ldexp_f32 v110, v110, v141
	s_delay_alu instid0(TRANS32_DEP_1) | instskip(NEXT) | instid1(VALU_DEP_3)
	v_ldexp_f32 v38, v38, v139
	v_cndmask_b32_e64 v106, 0, v106, s0
	v_cmp_ngt_f32_e64 s0, 0xc2ce8ed0, v91
	s_delay_alu instid0(VALU_DEP_1) | instskip(SKIP_1) | instid1(VALU_DEP_1)
	v_cndmask_b32_e64 v107, 0, v107, s0
	v_cmp_ngt_f32_e64 s0, 0xc2ce8ed0, v92
	v_cndmask_b32_e64 v108, 0, v108, s0
	v_cmp_ngt_f32_e64 s0, 0xc2ce8ed0, v93
	s_delay_alu instid0(VALU_DEP_1) | instskip(SKIP_1) | instid1(VALU_DEP_1)
	v_cndmask_b32_e64 v109, 0, v109, s0
	v_cmp_ngt_f32_e64 s0, 0xc2ce8ed0, v94
	v_cndmask_b32_e64 v38, 0, v38, s0
	v_cmp_ngt_f32_e64 s0, 0xc2ce8ed0, v95
	s_delay_alu instid0(VALU_DEP_1) | instskip(SKIP_2) | instid1(VALU_DEP_2)
	v_cndmask_b32_e64 v110, 0, v110, s0
	v_cmp_nlt_f32_e64 s0, 0x42b17218, v20
	v_mul_f32_e32 v20, v19, v51
	v_cndmask_b32_e64 v97, 0x7f800000, v97, s0
	v_cmp_ngt_f32_e64 s0, 0xc2ce8ed0, v96
	s_delay_alu instid0(VALU_DEP_2) | instskip(NEXT) | instid1(VALU_DEP_2)
	v_fmac_f32_e32 v20, v22, v97
	v_cndmask_b32_e64 v51, 0, v111, s0
	v_cmp_nlt_f32_e64 s0, 0x42b17218, v39
	v_mul_f32_e32 v22, v19, v53
	s_delay_alu instid0(VALU_DEP_2) | instskip(SKIP_1) | instid1(VALU_DEP_2)
	v_cndmask_b32_e64 v39, 0x7f800000, v98, s0
	v_cmp_nlt_f32_e64 s0, 0x42b17218, v40
	v_fmac_f32_e32 v37, v23, v39
	s_delay_alu instid0(VALU_DEP_2) | instskip(SKIP_1) | instid1(VALU_DEP_2)
	v_cndmask_b32_e64 v40, 0x7f800000, v99, s0
	v_cmp_nlt_f32_e64 s0, 0x42b17218, v84
	v_dual_mul_f32 v23, v19, v54 :: v_dual_fmac_f32 v22, v24, v40
	s_delay_alu instid0(VALU_DEP_2) | instskip(SKIP_3) | instid1(VALU_DEP_3)
	v_cndmask_b32_e64 v52, 0x7f800000, v100, s0
	v_cmp_nlt_f32_e64 s0, 0x42b17218, v85
	s_waitcnt lgkmcnt(6)
	v_mul_f32_e32 v24, v19, v56
	v_fmac_f32_e32 v23, v25, v52
	s_delay_alu instid0(VALU_DEP_3) | instskip(SKIP_1) | instid1(VALU_DEP_2)
	v_cndmask_b32_e64 v40, 0x7f800000, v101, s0
	v_cmp_nlt_f32_e64 s0, 0x42b17218, v86
	v_dual_mul_f32 v25, v19, v57 :: v_dual_fmac_f32 v24, v26, v40
	s_delay_alu instid0(VALU_DEP_2) | instskip(SKIP_2) | instid1(VALU_DEP_3)
	v_cndmask_b32_e64 v52, 0x7f800000, v102, s0
	v_cmp_nlt_f32_e64 s0, 0x42b17218, v87
	v_mul_f32_e32 v26, v19, v58
	v_fmac_f32_e32 v25, v27, v52
	s_delay_alu instid0(VALU_DEP_3) | instskip(SKIP_1) | instid1(VALU_DEP_2)
	v_cndmask_b32_e64 v40, 0x7f800000, v103, s0
	v_cmp_nlt_f32_e64 s0, 0x42b17218, v88
	v_dual_mul_f32 v27, v19, v59 :: v_dual_fmac_f32 v26, v28, v40
	s_delay_alu instid0(VALU_DEP_2) | instskip(SKIP_3) | instid1(VALU_DEP_3)
	v_cndmask_b32_e64 v52, 0x7f800000, v104, s0
	v_cmp_nlt_f32_e64 s0, 0x42b17218, v89
	s_waitcnt lgkmcnt(5)
	v_mul_f32_e32 v28, v19, v60
	v_fmac_f32_e32 v27, v29, v52
	s_delay_alu instid0(VALU_DEP_3) | instskip(SKIP_1) | instid1(VALU_DEP_2)
	v_cndmask_b32_e64 v40, 0x7f800000, v105, s0
	v_cmp_nlt_f32_e64 s0, 0x42b17218, v90
	v_dual_mul_f32 v29, v19, v61 :: v_dual_fmac_f32 v28, v30, v40
	s_delay_alu instid0(VALU_DEP_2) | instskip(SKIP_2) | instid1(VALU_DEP_3)
	v_cndmask_b32_e64 v52, 0x7f800000, v106, s0
	v_cmp_nlt_f32_e64 s0, 0x42b17218, v91
	v_mul_f32_e32 v30, v19, v62
	v_fmac_f32_e32 v29, v31, v52
	s_delay_alu instid0(VALU_DEP_3) | instskip(SKIP_1) | instid1(VALU_DEP_2)
	v_cndmask_b32_e64 v40, 0x7f800000, v107, s0
	v_cmp_nlt_f32_e64 s0, 0x42b17218, v92
	v_dual_mul_f32 v31, v19, v63 :: v_dual_fmac_f32 v30, v32, v40
	s_delay_alu instid0(VALU_DEP_2) | instskip(SKIP_3) | instid1(VALU_DEP_3)
	v_cndmask_b32_e64 v52, 0x7f800000, v108, s0
	v_cmp_nlt_f32_e64 s0, 0x42b17218, v93
	s_waitcnt lgkmcnt(4)
	v_mul_f32_e32 v32, v19, v64
	v_fmac_f32_e32 v31, v33, v52
	s_waitcnt lgkmcnt(3)
	v_fma_f32 v39, v68, v20, 0
	v_mul_f32_e32 v33, v19, v65
	v_cndmask_b32_e64 v40, 0x7f800000, v109, s0
	v_cmp_nlt_f32_e64 s0, 0x42b17218, v94
	s_delay_alu instid0(VALU_DEP_2) | instskip(NEXT) | instid1(VALU_DEP_2)
	v_dual_fmac_f32 v39, v69, v37 :: v_dual_fmac_f32 v32, v34, v40
	v_cndmask_b32_e64 v38, 0x7f800000, v38, s0
	v_mul_f32_e32 v34, v19, v66
	s_delay_alu instid0(VALU_DEP_3) | instskip(SKIP_3) | instid1(VALU_DEP_4)
	v_fmac_f32_e32 v39, v70, v22
	v_mul_f32_e32 v19, v19, v67
	v_cmp_nlt_f32_e64 s0, 0x42b17218, v95
	v_fmac_f32_e32 v33, v35, v38
	v_fmac_f32_e32 v39, v71, v23
	s_delay_alu instid0(VALU_DEP_3) | instskip(SKIP_2) | instid1(VALU_DEP_3)
	v_cndmask_b32_e64 v40, 0x7f800000, v110, s0
	v_cmp_nlt_f32_e64 s0, 0x42b17218, v96
	s_waitcnt lgkmcnt(2)
	v_fmac_f32_e32 v39, v72, v24
	s_delay_alu instid0(VALU_DEP_3) | instskip(NEXT) | instid1(VALU_DEP_3)
	v_fmac_f32_e32 v34, v36, v40
	v_cndmask_b32_e64 v35, 0x7f800000, v51, s0
	s_ashr_i64 s[0:1], s[18:19], 28
	s_delay_alu instid0(VALU_DEP_3) | instskip(NEXT) | instid1(VALU_DEP_2)
	v_fmac_f32_e32 v39, v73, v25
	v_fmac_f32_e32 v19, v21, v35
	v_add_co_u32 v35, s0, v47, s0
	s_delay_alu instid0(VALU_DEP_3) | instskip(SKIP_1) | instid1(VALU_DEP_2)
	v_fmac_f32_e32 v39, v74, v26
	v_add_co_ci_u32_e64 v36, s0, s1, v48, s0
	v_fmac_f32_e32 v39, v75, v27
	s_waitcnt lgkmcnt(1)
	s_delay_alu instid0(VALU_DEP_1) | instskip(NEXT) | instid1(VALU_DEP_1)
	v_fmac_f32_e32 v39, v76, v28
	v_fmac_f32_e32 v39, v77, v29
	s_delay_alu instid0(VALU_DEP_1) | instskip(NEXT) | instid1(VALU_DEP_1)
	v_fmac_f32_e32 v39, v78, v30
	v_fmac_f32_e32 v39, v79, v31
	s_waitcnt lgkmcnt(0)
	s_delay_alu instid0(VALU_DEP_1) | instskip(NEXT) | instid1(VALU_DEP_1)
	v_fmac_f32_e32 v39, v80, v32
	v_fmac_f32_e32 v39, v81, v33
	s_delay_alu instid0(VALU_DEP_1) | instskip(NEXT) | instid1(VALU_DEP_1)
	v_fmac_f32_e32 v39, v82, v34
	v_fmac_f32_e32 v39, v83, v19
	global_store_b32 v[35:36], v39, off
	s_waitcnt_vscnt null, 0x0
	s_barrier
	buffer_gl0_inv
	s_and_saveexec_b32 s0, vcc_lo
	s_cbranch_execz .LBB7_22
; %bb.21:
	v_mad_i64_i32 v[35:36], null, s2, 20, v[43:44]
	v_mad_i64_i32 v[38:39], null, s10, 20, v[45:46]
	global_load_b32 v21, v[35:36], off
	global_load_b32 v35, v[38:39], off
	s_waitcnt vmcnt(1)
	ds_store_b32 v55, v21
	s_waitcnt vmcnt(0)
	ds_store_b32 v0, v35
.LBB7_22:
	s_or_b32 exec_lo, exec_lo, s0
	v_add_co_u32 v17, vcc_lo, v17, s8
	v_add_co_ci_u32_e32 v18, vcc_lo, s9, v18, vcc_lo
	s_waitcnt lgkmcnt(0)
	s_barrier
	buffer_gl0_inv
	global_load_b32 v0, v[17:18], off
	s_mov_b32 s1, exec_lo
	s_waitcnt vmcnt(0)
	v_cmpx_ge_f32_e32 0x41a00000, v0
	s_cbranch_execz .LBB7_24
; %bb.23:
	v_mul_f32_e32 v17, 0x3fb8aa3b, v0
	v_cmp_ngt_f32_e32 vcc_lo, 0xc2ce8ed0, v0
	s_mov_b32 s0, 0x3e9b6dac
	s_delay_alu instid0(VALU_DEP_2) | instskip(SKIP_1) | instid1(VALU_DEP_2)
	v_rndne_f32_e32 v18, v17
	v_fma_f32 v21, 0x3fb8aa3b, v0, -v17
	v_sub_f32_e32 v17, v17, v18
	s_delay_alu instid0(VALU_DEP_2) | instskip(SKIP_1) | instid1(VALU_DEP_2)
	v_fmamk_f32 v21, v0, 0x32a5705f, v21
	v_cvt_i32_f32_e32 v18, v18
	v_add_f32_e32 v17, v17, v21
	s_delay_alu instid0(VALU_DEP_1) | instskip(SKIP_2) | instid1(VALU_DEP_1)
	v_exp_f32_e32 v17, v17
	s_waitcnt_depctr 0xfff
	v_ldexp_f32 v17, v17, v18
	v_cndmask_b32_e32 v17, 0, v17, vcc_lo
	v_cmp_nlt_f32_e32 vcc_lo, 0x42b17218, v0
	s_delay_alu instid0(VALU_DEP_2) | instskip(NEXT) | instid1(VALU_DEP_1)
	v_cndmask_b32_e32 v0, 0x7f800000, v17, vcc_lo
	v_add_f32_e32 v21, 1.0, v0
	s_delay_alu instid0(VALU_DEP_1) | instskip(NEXT) | instid1(VALU_DEP_1)
	v_cvt_f64_f32_e32 v[17:18], v21
	v_frexp_exp_i32_f64_e32 v17, v[17:18]
	v_frexp_mant_f32_e32 v18, v21
	s_delay_alu instid0(VALU_DEP_1) | instskip(SKIP_1) | instid1(VALU_DEP_1)
	v_cmp_gt_f32_e32 vcc_lo, 0x3f2aaaab, v18
	v_add_f32_e32 v18, -1.0, v21
	v_sub_f32_e32 v36, v18, v21
	v_sub_f32_e32 v18, v0, v18
	s_delay_alu instid0(VALU_DEP_2) | instskip(NEXT) | instid1(VALU_DEP_1)
	v_add_f32_e32 v36, 1.0, v36
	v_add_f32_e32 v18, v18, v36
	v_subrev_co_ci_u32_e32 v17, vcc_lo, 0, v17, vcc_lo
	s_delay_alu instid0(VALU_DEP_1) | instskip(SKIP_1) | instid1(VALU_DEP_2)
	v_sub_nc_u32_e32 v35, 0, v17
	v_cvt_f32_i32_e32 v17, v17
	v_ldexp_f32 v21, v21, v35
	v_ldexp_f32 v18, v18, v35
	s_delay_alu instid0(VALU_DEP_2) | instskip(NEXT) | instid1(VALU_DEP_1)
	v_add_f32_e32 v35, -1.0, v21
	v_dual_add_f32 v39, 1.0, v35 :: v_dual_add_f32 v38, 1.0, v21
	v_cmp_eq_f32_e32 vcc_lo, 0x7f800000, v0
	s_delay_alu instid0(VALU_DEP_2) | instskip(NEXT) | instid1(VALU_DEP_1)
	v_add_f32_e32 v36, -1.0, v38
	v_sub_f32_e32 v36, v21, v36
	s_delay_alu instid0(VALU_DEP_1) | instskip(NEXT) | instid1(VALU_DEP_1)
	v_dual_sub_f32 v21, v21, v39 :: v_dual_add_f32 v36, v18, v36
	v_add_f32_e32 v18, v18, v21
	s_delay_alu instid0(VALU_DEP_1) | instskip(NEXT) | instid1(VALU_DEP_1)
	v_dual_add_f32 v39, v38, v36 :: v_dual_add_f32 v40, v35, v18
	v_rcp_f32_e32 v21, v39
	s_delay_alu instid0(VALU_DEP_1) | instskip(SKIP_2) | instid1(VALU_DEP_1)
	v_dual_sub_f32 v38, v38, v39 :: v_dual_sub_f32 v35, v35, v40
	s_waitcnt_depctr 0xfff
	v_mul_f32_e32 v43, v40, v21
	v_mul_f32_e32 v44, v39, v43
	v_add_f32_e32 v36, v36, v38
	s_delay_alu instid0(VALU_DEP_2) | instskip(NEXT) | instid1(VALU_DEP_1)
	v_fma_f32 v38, v43, v39, -v44
	v_fmac_f32_e32 v38, v43, v36
	s_delay_alu instid0(VALU_DEP_1) | instskip(NEXT) | instid1(VALU_DEP_1)
	v_dual_add_f32 v45, v44, v38 :: v_dual_add_f32 v18, v18, v35
	v_dual_sub_f32 v35, v45, v44 :: v_dual_sub_f32 v46, v40, v45
	s_delay_alu instid0(VALU_DEP_1) | instskip(NEXT) | instid1(VALU_DEP_2)
	v_sub_f32_e32 v35, v35, v38
	v_sub_f32_e32 v40, v40, v46
	s_delay_alu instid0(VALU_DEP_1) | instskip(NEXT) | instid1(VALU_DEP_1)
	v_sub_f32_e32 v40, v40, v45
	v_add_f32_e32 v18, v18, v40
	s_delay_alu instid0(VALU_DEP_1) | instskip(NEXT) | instid1(VALU_DEP_1)
	v_add_f32_e32 v18, v35, v18
	v_add_f32_e32 v35, v46, v18
	s_delay_alu instid0(VALU_DEP_1) | instskip(NEXT) | instid1(VALU_DEP_1)
	v_mul_f32_e32 v38, v21, v35
	v_dual_sub_f32 v45, v46, v35 :: v_dual_mul_f32 v40, v39, v38
	s_delay_alu instid0(VALU_DEP_1) | instskip(NEXT) | instid1(VALU_DEP_2)
	v_add_f32_e32 v18, v18, v45
	v_fma_f32 v39, v38, v39, -v40
	s_delay_alu instid0(VALU_DEP_1) | instskip(NEXT) | instid1(VALU_DEP_1)
	v_fmac_f32_e32 v39, v38, v36
	v_add_f32_e32 v36, v40, v39
	s_delay_alu instid0(VALU_DEP_1) | instskip(SKIP_1) | instid1(VALU_DEP_2)
	v_sub_f32_e32 v44, v35, v36
	v_sub_f32_e32 v40, v36, v40
	;; [unrolled: 1-line block ×3, first 2 shown]
	s_delay_alu instid0(VALU_DEP_1) | instskip(NEXT) | instid1(VALU_DEP_1)
	v_dual_sub_f32 v35, v35, v36 :: v_dual_sub_f32 v36, v40, v39
	v_dual_add_f32 v18, v18, v35 :: v_dual_add_f32 v35, v43, v38
	s_delay_alu instid0(VALU_DEP_1) | instskip(NEXT) | instid1(VALU_DEP_2)
	v_add_f32_e32 v18, v36, v18
	v_sub_f32_e32 v36, v35, v43
	s_delay_alu instid0(VALU_DEP_2) | instskip(NEXT) | instid1(VALU_DEP_2)
	v_add_f32_e32 v18, v44, v18
	v_sub_f32_e32 v36, v38, v36
	s_delay_alu instid0(VALU_DEP_2) | instskip(NEXT) | instid1(VALU_DEP_1)
	v_mul_f32_e32 v18, v21, v18
	v_add_f32_e32 v18, v36, v18
	s_delay_alu instid0(VALU_DEP_1) | instskip(NEXT) | instid1(VALU_DEP_1)
	v_add_f32_e32 v21, v35, v18
	v_mul_f32_e32 v36, v21, v21
	s_delay_alu instid0(VALU_DEP_1) | instskip(SKIP_2) | instid1(VALU_DEP_3)
	v_fmaak_f32 v38, s0, v36, 0x3ecc95a3
	v_mul_f32_e32 v39, v21, v36
	v_cmp_gt_f32_e64 s0, 0x33800000, v0
	v_fmaak_f32 v36, v36, v38, 0x3f2aaada
	v_ldexp_f32 v38, v21, 1
	v_sub_f32_e32 v21, v21, v35
	s_delay_alu instid0(VALU_DEP_4) | instskip(NEXT) | instid1(VALU_DEP_3)
	s_or_b32 vcc_lo, s0, vcc_lo
	v_dual_mul_f32 v36, v39, v36 :: v_dual_mul_f32 v39, 0x3f317218, v17
	s_delay_alu instid0(VALU_DEP_2) | instskip(NEXT) | instid1(VALU_DEP_2)
	v_sub_f32_e32 v18, v18, v21
	v_add_f32_e32 v35, v38, v36
	s_delay_alu instid0(VALU_DEP_2) | instskip(NEXT) | instid1(VALU_DEP_2)
	v_ldexp_f32 v18, v18, 1
	v_sub_f32_e32 v21, v35, v38
	v_fma_f32 v38, 0x3f317218, v17, -v39
	s_delay_alu instid0(VALU_DEP_2) | instskip(NEXT) | instid1(VALU_DEP_1)
	v_sub_f32_e32 v21, v36, v21
	v_dual_fmamk_f32 v17, v17, 0xb102e308, v38 :: v_dual_add_f32 v18, v18, v21
	s_delay_alu instid0(VALU_DEP_1) | instskip(NEXT) | instid1(VALU_DEP_1)
	v_add_f32_e32 v21, v39, v17
	v_dual_add_f32 v36, v35, v18 :: v_dual_sub_f32 v39, v21, v39
	s_delay_alu instid0(VALU_DEP_1) | instskip(NEXT) | instid1(VALU_DEP_2)
	v_sub_f32_e32 v35, v36, v35
	v_sub_f32_e32 v17, v17, v39
	v_add_f32_e32 v38, v21, v36
	s_delay_alu instid0(VALU_DEP_3) | instskip(NEXT) | instid1(VALU_DEP_2)
	v_sub_f32_e32 v18, v18, v35
	v_sub_f32_e32 v40, v38, v21
	s_delay_alu instid0(VALU_DEP_1) | instskip(NEXT) | instid1(VALU_DEP_3)
	v_sub_f32_e32 v43, v38, v40
	v_dual_sub_f32 v35, v36, v40 :: v_dual_add_f32 v36, v17, v18
	s_delay_alu instid0(VALU_DEP_2) | instskip(NEXT) | instid1(VALU_DEP_1)
	v_sub_f32_e32 v21, v21, v43
	v_add_f32_e32 v21, v35, v21
	s_delay_alu instid0(VALU_DEP_3) | instskip(NEXT) | instid1(VALU_DEP_2)
	v_sub_f32_e32 v35, v36, v17
	v_add_f32_e32 v21, v36, v21
	s_delay_alu instid0(VALU_DEP_2) | instskip(SKIP_1) | instid1(VALU_DEP_3)
	v_sub_f32_e32 v36, v36, v35
	v_sub_f32_e32 v18, v18, v35
	v_add_f32_e32 v39, v38, v21
	s_delay_alu instid0(VALU_DEP_3) | instskip(NEXT) | instid1(VALU_DEP_2)
	v_sub_f32_e32 v17, v17, v36
	v_sub_f32_e32 v35, v39, v38
	s_delay_alu instid0(VALU_DEP_1) | instskip(NEXT) | instid1(VALU_DEP_1)
	v_dual_add_f32 v17, v18, v17 :: v_dual_sub_f32 v18, v21, v35
	v_add_f32_e32 v17, v17, v18
	s_delay_alu instid0(VALU_DEP_1) | instskip(NEXT) | instid1(VALU_DEP_1)
	v_add_f32_e32 v17, v39, v17
	v_cndmask_b32_e32 v0, v17, v0, vcc_lo
.LBB7_24:
	s_or_b32 exec_lo, exec_lo, s1
	v_mad_i64_i32 v[17:18], null, s6, 20, v[49:50]
	s_add_u32 s0, s30, s20
	s_mul_i32 s1, s14, s5
	s_addc_u32 s2, s31, s21
	s_add_u32 s0, s0, s1
	s_addc_u32 s1, s2, 0
	s_add_u32 s0, s0, s28
	global_load_b32 v17, v[17:18], off
	v_dual_mul_f32 v18, v0, v13 :: v_dual_mov_b32 v21, 0
	v_mul_f32_e32 v36, v0, v15
	s_addc_u32 s1, s1, s29
	s_delay_alu instid0(VALU_DEP_2) | instskip(NEXT) | instid1(VALU_DEP_2)
	v_mul_f32_e32 v71, 0x3fb8aa3b, v18
	v_dual_mul_f32 v40, v0, v10 :: v_dual_mul_f32 v73, 0x3fb8aa3b, v36
	v_mul_f32_e32 v35, v0, v14
	v_cmp_ngt_f32_e32 vcc_lo, 0xc2ce8ed0, v18
	s_delay_alu instid0(VALU_DEP_4) | instskip(NEXT) | instid1(VALU_DEP_4)
	v_fma_f32 v86, 0x3fb8aa3b, v18, -v71
	v_dual_mul_f32 v76, 0x3fb8aa3b, v40 :: v_dual_mul_f32 v39, v0, v9
	s_delay_alu instid0(VALU_DEP_4) | instskip(SKIP_4) | instid1(VALU_DEP_4)
	v_mul_f32_e32 v72, 0x3fb8aa3b, v35
	v_mul_f32_e32 v38, v0, v16
	v_fma_f32 v90, 0x3fb8aa3b, v36, -v73
	v_rndne_f32_e32 v91, v73
	v_mul_f32_e32 v75, 0x3fb8aa3b, v39
	v_dual_mul_f32 v61, v0, v11 :: v_dual_mul_f32 v74, 0x3fb8aa3b, v38
	v_mul_f32_e32 v62, v0, v12
	v_fma_f32 v96, 0x3fb8aa3b, v40, -v76
	v_dual_fmac_f32 v90, 0x32a5705f, v36 :: v_dual_sub_f32 v73, v73, v91
	s_delay_alu instid0(VALU_DEP_4) | instskip(NEXT) | instid1(VALU_DEP_4)
	v_mul_f32_e32 v77, 0x3fb8aa3b, v61
	v_dual_mul_f32 v63, v0, v5 :: v_dual_mul_f32 v78, 0x3fb8aa3b, v62
	v_mul_f32_e32 v64, v0, v6
	v_rndne_f32_e32 v87, v71
	v_dual_mul_f32 v69, v0, v3 :: v_dual_fmac_f32 v86, 0x32a5705f, v18
	s_delay_alu instid0(VALU_DEP_4) | instskip(NEXT) | instid1(VALU_DEP_4)
	v_mul_f32_e32 v79, 0x3fb8aa3b, v63
	v_dual_mul_f32 v65, v0, v7 :: v_dual_mul_f32 v80, 0x3fb8aa3b, v64
	v_dual_mul_f32 v66, v0, v8 :: v_dual_add_f32 v73, v73, v90
	s_delay_alu instid0(VALU_DEP_3) | instskip(NEXT) | instid1(VALU_DEP_3)
	v_fma_f32 v102, 0x3fb8aa3b, v63, -v79
	v_mul_f32_e32 v81, 0x3fb8aa3b, v65
	v_rndne_f32_e32 v103, v79
	v_dual_fmac_f32 v96, 0x32a5705f, v40 :: v_dual_mul_f32 v67, v0, v1
	v_mul_f32_e32 v82, 0x3fb8aa3b, v66
	s_delay_alu instid0(VALU_DEP_4) | instskip(SKIP_3) | instid1(VALU_DEP_4)
	v_fma_f32 v106, 0x3fb8aa3b, v65, -v81
	v_fmac_f32_e32 v102, 0x32a5705f, v63
	v_dual_sub_f32 v79, v79, v103 :: v_dual_mul_f32 v68, v0, v2
	v_mul_f32_e32 v83, 0x3fb8aa3b, v67
	v_fmac_f32_e32 v106, 0x32a5705f, v65
	v_dual_mul_f32 v70, v0, v4 :: v_dual_sub_f32 v71, v71, v87
	s_delay_alu instid0(VALU_DEP_4)
	v_add_f32_e32 v79, v79, v102
	ds_load_b128 v[1:4], v21
	ds_load_b128 v[5:8], v21 offset:16
	ds_load_b128 v[9:12], v21 offset:32
	ds_load_b128 v[13:16], v21 offset:48
	ds_load_b128 v[43:46], v21 offset:64
	ds_load_b128 v[49:52], v21 offset:80
	ds_load_b128 v[53:56], v21 offset:96
	ds_load_b128 v[57:60], v21 offset:112
	v_dual_mul_f32 v21, 0x3fb8aa3b, v68 :: v_dual_mul_f32 v84, 0x3fb8aa3b, v69
	v_fma_f32 v88, 0x3fb8aa3b, v35, -v72
	v_rndne_f32_e32 v89, v72
	v_rndne_f32_e32 v101, v78
	v_exp_f32_e32 v79, v79
	v_mul_f32_e32 v85, 0x3fb8aa3b, v70
	v_rndne_f32_e32 v97, v76
	v_sub_f32_e32 v72, v72, v89
	v_fma_f32 v100, 0x3fb8aa3b, v62, -v78
	v_rndne_f32_e32 v107, v81
	v_rndne_f32_e32 v113, v21
	v_fmac_f32_e32 v88, 0x32a5705f, v35
	v_dual_sub_f32 v78, v78, v101 :: v_dual_add_f32 v71, v71, v86
	v_cvt_i32_f32_e32 v103, v103
	v_rndne_f32_e32 v109, v82
	v_fma_f32 v112, 0x3fb8aa3b, v68, -v21
	v_dual_sub_f32 v76, v76, v97 :: v_dual_sub_f32 v81, v81, v107
	v_sub_f32_e32 v21, v21, v113
	v_exp_f32_e32 v71, v71
	v_ldexp_f32 v79, v79, v103
	v_add_f32_e32 v72, v72, v88
	v_fma_f32 v108, 0x3fb8aa3b, v66, -v82
	v_cvt_i32_f32_e32 v87, v87
	v_dual_sub_f32 v82, v82, v109 :: v_dual_add_f32 v81, v81, v106
	s_delay_alu instid0(VALU_DEP_4)
	v_exp_f32_e32 v72, v72
	v_fma_f32 v92, 0x3fb8aa3b, v38, -v74
	v_rndne_f32_e32 v93, v74
	v_fma_f32 v114, 0x3fb8aa3b, v69, -v84
	v_cvt_i32_f32_e32 v89, v89
	v_exp_f32_e32 v73, v73
	v_exp_f32_e32 v81, v81
	v_ldexp_f32 v71, v71, v87
	v_fma_f32 v94, 0x3fb8aa3b, v39, -v75
	v_rndne_f32_e32 v95, v75
	v_fma_f32 v98, 0x3fb8aa3b, v61, -v77
	v_rndne_f32_e32 v99, v77
	;; [unrolled: 2-line block ×3, first 2 shown]
	v_cvt_i32_f32_e32 v91, v91
	v_dual_fmac_f32 v92, 0x32a5705f, v38 :: v_dual_sub_f32 v75, v75, v95
	v_dual_sub_f32 v74, v74, v93 :: v_dual_sub_f32 v77, v77, v99
	v_cvt_i32_f32_e32 v107, v107
	v_dual_fmac_f32 v114, 0x32a5705f, v69 :: v_dual_cndmask_b32 v71, 0, v71
	v_ldexp_f32 v72, v72, v89
	v_cmp_ngt_f32_e32 vcc_lo, 0xc2ce8ed0, v35
	v_fma_f32 v104, 0x3fb8aa3b, v64, -v80
	v_rndne_f32_e32 v117, v85
	v_fmac_f32_e32 v94, 0x32a5705f, v39
	v_dual_fmac_f32 v98, 0x32a5705f, v61 :: v_dual_sub_f32 v83, v83, v111
	v_ldexp_f32 v73, v73, v91
	v_ldexp_f32 v81, v81, v107
	v_add_f32_e32 v74, v74, v92
	v_cndmask_b32_e32 v72, 0, v72, vcc_lo
	v_cmp_ngt_f32_e32 vcc_lo, 0xc2ce8ed0, v36
	v_fmac_f32_e32 v110, 0x32a5705f, v67
	v_fma_f32 v116, 0x3fb8aa3b, v70, -v85
	v_dual_sub_f32 v85, v85, v117 :: v_dual_fmac_f32 v104, 0x32a5705f, v64
	v_add_f32_e32 v75, v75, v94
	v_exp_f32_e32 v74, v74
	v_dual_cndmask_b32 v73, 0, v73 :: v_dual_fmac_f32 v112, 0x32a5705f, v68
	v_add_f32_e32 v83, v83, v110
	v_cvt_i32_f32_e32 v93, v93
	v_exp_f32_e32 v75, v75
	v_cvt_i32_f32_e32 v95, v95
	v_dual_fmac_f32 v100, 0x32a5705f, v62 :: v_dual_add_f32 v21, v21, v112
	v_exp_f32_e32 v83, v83
	v_cvt_i32_f32_e32 v111, v111
	s_delay_alu instid0(TRANS32_DEP_3) | instskip(SKIP_3) | instid1(TRANS32_DEP_3)
	v_ldexp_f32 v74, v74, v93
	v_cmp_ngt_f32_e32 vcc_lo, 0xc2ce8ed0, v38
	v_rndne_f32_e32 v105, v80
	v_exp_f32_e32 v21, v21
	v_ldexp_f32 v75, v75, v95
	v_cvt_i32_f32_e32 v113, v113
	v_cndmask_b32_e32 v74, 0, v74, vcc_lo
	v_cmp_ngt_f32_e32 vcc_lo, 0xc2ce8ed0, v39
	v_fmac_f32_e32 v116, 0x32a5705f, v70
	v_ldexp_f32 v83, v83, v111
	v_add_f32_e32 v76, v76, v96
	v_dual_sub_f32 v80, v80, v105 :: v_dual_add_f32 v77, v77, v98
	v_dual_cndmask_b32 v75, 0, v75 :: v_dual_fmac_f32 v108, 0x32a5705f, v66
	v_add_f32_e32 v85, v85, v116
	s_delay_alu instid0(VALU_DEP_4)
	v_exp_f32_e32 v76, v76
	v_cvt_i32_f32_e32 v97, v97
	v_exp_f32_e32 v77, v77
	v_ldexp_f32 v21, v21, v113
	v_add_f32_e32 v78, v78, v100
	v_exp_f32_e32 v85, v85
	v_cvt_i32_f32_e32 v99, v99
	v_cvt_i32_f32_e32 v117, v117
	v_add_f32_e32 v82, v82, v108
	v_exp_f32_e32 v78, v78
	v_ldexp_f32 v76, v76, v97
	v_cmp_ngt_f32_e32 vcc_lo, 0xc2ce8ed0, v40
	v_rndne_f32_e32 v115, v84
	v_cvt_i32_f32_e32 v101, v101
	v_ldexp_f32 v77, v77, v99
	v_ldexp_f32 v85, v85, v117
	v_add_f32_e32 v80, v80, v104
	v_cvt_i32_f32_e32 v105, v105
	v_cvt_i32_f32_e32 v109, v109
	v_ldexp_f32 v78, v78, v101
	s_delay_alu instid0(VALU_DEP_4)
	v_exp_f32_e32 v80, v80
	s_waitcnt_depctr 0xfff
	v_ldexp_f32 v80, v80, v105
	s_waitcnt vmcnt(0)
	v_mul_f32_e32 v17, v0, v17
	v_exp_f32_e32 v82, v82
	s_waitcnt lgkmcnt(7)
	s_delay_alu instid0(VALU_DEP_1)
	v_mul_f32_e32 v0, v17, v1
	v_mul_f32_e32 v1, v17, v2
	;; [unrolled: 1-line block ×4, first 2 shown]
	v_cndmask_b32_e32 v76, 0, v76, vcc_lo
	v_cmp_ngt_f32_e32 vcc_lo, 0xc2ce8ed0, v61
	v_sub_f32_e32 v84, v84, v115
	s_delay_alu instid0(TRANS32_DEP_1)
	v_ldexp_f32 v82, v82, v109
	v_cvt_i32_f32_e32 v115, v115
	s_waitcnt lgkmcnt(6)
	v_mul_f32_e32 v4, v17, v5
	v_cndmask_b32_e32 v77, 0, v77, vcc_lo
	v_cmp_ngt_f32_e32 vcc_lo, 0xc2ce8ed0, v62
	v_add_f32_e32 v84, v84, v114
	v_mul_f32_e32 v5, v17, v6
	v_mul_f32_e32 v6, v17, v7
	v_dual_mul_f32 v7, v17, v8 :: v_dual_cndmask_b32 v78, 0, v78
	v_cmp_ngt_f32_e32 vcc_lo, 0xc2ce8ed0, v63
	v_exp_f32_e32 v84, v84
	s_waitcnt lgkmcnt(5)
	v_mul_f32_e32 v8, v17, v9
	v_mul_f32_e32 v9, v17, v10
	;; [unrolled: 1-line block ×3, first 2 shown]
	v_cndmask_b32_e32 v79, 0, v79, vcc_lo
	v_cmp_ngt_f32_e32 vcc_lo, 0xc2ce8ed0, v64
	v_mul_f32_e32 v11, v17, v12
	s_waitcnt lgkmcnt(4)
	v_mul_f32_e32 v12, v17, v13
	v_mul_f32_e32 v13, v17, v14
	;; [unrolled: 1-line block ×3, first 2 shown]
	v_cndmask_b32_e32 v80, 0, v80, vcc_lo
	v_cmp_ngt_f32_e32 vcc_lo, 0xc2ce8ed0, v65
	v_ldexp_f32 v84, v84, v115
	v_mul_f32_e32 v15, v17, v16
	v_mad_i64_i32 v[16:17], null, s12, 20, v[47:48]
	v_cndmask_b32_e32 v81, 0, v81, vcc_lo
	v_cmp_ngt_f32_e32 vcc_lo, 0xc2ce8ed0, v66
	v_cndmask_b32_e32 v82, 0, v82, vcc_lo
	v_cmp_ngt_f32_e32 vcc_lo, 0xc2ce8ed0, v67
	;; [unrolled: 2-line block ×4, first 2 shown]
	v_cndmask_b32_e32 v84, 0, v84, vcc_lo
	v_cmp_nlt_f32_e32 vcc_lo, 0x42b17218, v18
	v_cndmask_b32_e32 v18, 0x7f800000, v71, vcc_lo
	v_cmp_ngt_f32_e32 vcc_lo, 0xc2ce8ed0, v70
	s_delay_alu instid0(VALU_DEP_2) | instskip(SKIP_3) | instid1(VALU_DEP_2)
	v_dual_fmac_f32 v0, v20, v18 :: v_dual_cndmask_b32 v71, 0, v85
	v_cmp_nlt_f32_e32 vcc_lo, 0x42b17218, v35
	v_cndmask_b32_e32 v35, 0x7f800000, v72, vcc_lo
	v_cmp_nlt_f32_e32 vcc_lo, 0x42b17218, v36
	v_dual_fmac_f32 v1, v37, v35 :: v_dual_cndmask_b32 v18, 0x7f800000, v73
	v_cmp_nlt_f32_e32 vcc_lo, 0x42b17218, v38
	s_delay_alu instid0(VALU_DEP_2) | instskip(SKIP_2) | instid1(VALU_DEP_2)
	v_fmac_f32_e32 v2, v22, v18
	v_cndmask_b32_e32 v35, 0x7f800000, v74, vcc_lo
	v_cmp_nlt_f32_e32 vcc_lo, 0x42b17218, v39
	v_fmac_f32_e32 v3, v23, v35
	v_cndmask_b32_e32 v18, 0x7f800000, v75, vcc_lo
	v_cmp_nlt_f32_e32 vcc_lo, 0x42b17218, v40
	s_delay_alu instid0(VALU_DEP_2) | instskip(SKIP_2) | instid1(VALU_DEP_2)
	v_fmac_f32_e32 v4, v24, v18
	v_cndmask_b32_e32 v22, 0x7f800000, v76, vcc_lo
	v_cmp_nlt_f32_e32 vcc_lo, 0x42b17218, v61
	v_dual_fmac_f32 v5, v25, v22 :: v_dual_cndmask_b32 v18, 0x7f800000, v77
	v_cmp_nlt_f32_e32 vcc_lo, 0x42b17218, v62
	s_delay_alu instid0(VALU_DEP_2) | instskip(SKIP_2) | instid1(VALU_DEP_2)
	v_fmac_f32_e32 v6, v26, v18
	v_cndmask_b32_e32 v22, 0x7f800000, v78, vcc_lo
	v_cmp_nlt_f32_e32 vcc_lo, 0x42b17218, v63
	v_dual_fmac_f32 v7, v27, v22 :: v_dual_cndmask_b32 v18, 0x7f800000, v79
	;; [unrolled: 6-line block ×4, first 2 shown]
	v_cmp_nlt_f32_e32 vcc_lo, 0x42b17218, v68
	s_delay_alu instid0(VALU_DEP_2) | instskip(SKIP_3) | instid1(VALU_DEP_3)
	v_dual_fmac_f32 v12, v32, v18 :: v_dual_cndmask_b32 v21, 0x7f800000, v21
	s_waitcnt lgkmcnt(3)
	v_fma_f32 v20, v43, v0, 0
	v_cmp_nlt_f32_e32 vcc_lo, 0x42b17218, v69
	v_fmac_f32_e32 v13, v33, v21
	s_delay_alu instid0(VALU_DEP_3) | instskip(SKIP_2) | instid1(VALU_DEP_2)
	v_fmac_f32_e32 v20, v44, v1
	v_cndmask_b32_e32 v18, 0x7f800000, v84, vcc_lo
	v_cmp_nlt_f32_e32 vcc_lo, 0x42b17218, v70
	v_dual_fmac_f32 v14, v34, v18 :: v_dual_cndmask_b32 v21, 0x7f800000, v71
	s_delay_alu instid0(VALU_DEP_4) | instskip(SKIP_1) | instid1(VALU_DEP_2)
	v_fmac_f32_e32 v20, v45, v2
	v_add_co_u32 v18, vcc_lo, s0, v41
	v_dual_fmac_f32 v15, v19, v21 :: v_dual_fmac_f32 v20, v46, v3
	v_add_co_ci_u32_e32 v19, vcc_lo, s1, v42, vcc_lo
	s_waitcnt lgkmcnt(2)
	s_delay_alu instid0(VALU_DEP_2) | instskip(NEXT) | instid1(VALU_DEP_1)
	v_fmac_f32_e32 v20, v49, v4
	v_fmac_f32_e32 v20, v50, v5
	s_delay_alu instid0(VALU_DEP_1) | instskip(NEXT) | instid1(VALU_DEP_1)
	v_fmac_f32_e32 v20, v51, v6
	v_fmac_f32_e32 v20, v52, v7
	s_waitcnt lgkmcnt(1)
	s_delay_alu instid0(VALU_DEP_1) | instskip(NEXT) | instid1(VALU_DEP_1)
	v_fmac_f32_e32 v20, v53, v8
	v_fmac_f32_e32 v20, v54, v9
	s_delay_alu instid0(VALU_DEP_1) | instskip(NEXT) | instid1(VALU_DEP_1)
	v_fmac_f32_e32 v20, v55, v10
	v_fmac_f32_e32 v20, v56, v11
	s_waitcnt lgkmcnt(0)
	s_delay_alu instid0(VALU_DEP_1) | instskip(NEXT) | instid1(VALU_DEP_1)
	v_fmac_f32_e32 v20, v57, v12
	v_fmac_f32_e32 v20, v58, v13
	s_delay_alu instid0(VALU_DEP_1) | instskip(NEXT) | instid1(VALU_DEP_1)
	v_fmac_f32_e32 v20, v59, v14
	v_fmac_f32_e32 v20, v60, v15
	global_store_b32 v[16:17], v20, off
	s_waitcnt_vscnt null, 0x0
	s_barrier
	buffer_gl0_inv
	s_clause 0x3
	global_store_b128 v[18:19], v[0:3], off
	global_store_b128 v[18:19], v[4:7], off offset:16
	global_store_b128 v[18:19], v[8:11], off offset:32
	;; [unrolled: 1-line block ×3, first 2 shown]
	s_nop 0
	s_sendmsg sendmsg(MSG_DEALLOC_VGPRS)
	s_endpgm
	.section	.rodata,"a",@progbits
	.p2align	6, 0x0
	.amdhsa_kernel _Z12ssm_scan_f32ILm128ELm16ELm6EEvPKfS1_S1_S1_S1_S1_PKiPfiiiiiiiiiiilll
		.amdhsa_group_segment_fixed_size 128
		.amdhsa_private_segment_fixed_size 0
		.amdhsa_kernarg_size 136
		.amdhsa_user_sgpr_count 14
		.amdhsa_user_sgpr_dispatch_ptr 0
		.amdhsa_user_sgpr_queue_ptr 0
		.amdhsa_user_sgpr_kernarg_segment_ptr 1
		.amdhsa_user_sgpr_dispatch_id 0
		.amdhsa_user_sgpr_private_segment_size 0
		.amdhsa_wavefront_size32 1
		.amdhsa_uses_dynamic_stack 0
		.amdhsa_enable_private_segment 0
		.amdhsa_system_sgpr_workgroup_id_x 1
		.amdhsa_system_sgpr_workgroup_id_y 1
		.amdhsa_system_sgpr_workgroup_id_z 0
		.amdhsa_system_sgpr_workgroup_info 0
		.amdhsa_system_vgpr_workitem_id 0
		.amdhsa_next_free_vgpr 146
		.amdhsa_next_free_sgpr 40
		.amdhsa_reserve_vcc 1
		.amdhsa_float_round_mode_32 0
		.amdhsa_float_round_mode_16_64 0
		.amdhsa_float_denorm_mode_32 3
		.amdhsa_float_denorm_mode_16_64 3
		.amdhsa_dx10_clamp 1
		.amdhsa_ieee_mode 1
		.amdhsa_fp16_overflow 0
		.amdhsa_workgroup_processor_mode 1
		.amdhsa_memory_ordered 1
		.amdhsa_forward_progress 0
		.amdhsa_shared_vgpr_count 0
		.amdhsa_exception_fp_ieee_invalid_op 0
		.amdhsa_exception_fp_denorm_src 0
		.amdhsa_exception_fp_ieee_div_zero 0
		.amdhsa_exception_fp_ieee_overflow 0
		.amdhsa_exception_fp_ieee_underflow 0
		.amdhsa_exception_fp_ieee_inexact 0
		.amdhsa_exception_int_div_zero 0
	.end_amdhsa_kernel
	.section	.text._Z12ssm_scan_f32ILm128ELm16ELm6EEvPKfS1_S1_S1_S1_S1_PKiPfiiiiiiiiiiilll,"axG",@progbits,_Z12ssm_scan_f32ILm128ELm16ELm6EEvPKfS1_S1_S1_S1_S1_PKiPfiiiiiiiiiiilll,comdat
.Lfunc_end7:
	.size	_Z12ssm_scan_f32ILm128ELm16ELm6EEvPKfS1_S1_S1_S1_S1_PKiPfiiiiiiiiiiilll, .Lfunc_end7-_Z12ssm_scan_f32ILm128ELm16ELm6EEvPKfS1_S1_S1_S1_S1_PKiPfiiiiiiiiiiilll
                                        ; -- End function
	.section	.AMDGPU.csdata,"",@progbits
; Kernel info:
; codeLenInByte = 18948
; NumSgprs: 42
; NumVgprs: 146
; ScratchSize: 0
; MemoryBound: 0
; FloatMode: 240
; IeeeMode: 1
; LDSByteSize: 128 bytes/workgroup (compile time only)
; SGPRBlocks: 5
; VGPRBlocks: 18
; NumSGPRsForWavesPerEU: 42
; NumVGPRsForWavesPerEU: 146
; Occupancy: 9
; WaveLimiterHint : 1
; COMPUTE_PGM_RSRC2:SCRATCH_EN: 0
; COMPUTE_PGM_RSRC2:USER_SGPR: 14
; COMPUTE_PGM_RSRC2:TRAP_HANDLER: 0
; COMPUTE_PGM_RSRC2:TGID_X_EN: 1
; COMPUTE_PGM_RSRC2:TGID_Y_EN: 1
; COMPUTE_PGM_RSRC2:TGID_Z_EN: 0
; COMPUTE_PGM_RSRC2:TIDIG_COMP_CNT: 0
	.section	.text._Z12ssm_scan_f32ILm128ELm16ELm7EEvPKfS1_S1_S1_S1_S1_PKiPfiiiiiiiiiiilll,"axG",@progbits,_Z12ssm_scan_f32ILm128ELm16ELm7EEvPKfS1_S1_S1_S1_S1_PKiPfiiiiiiiiiiilll,comdat
	.protected	_Z12ssm_scan_f32ILm128ELm16ELm7EEvPKfS1_S1_S1_S1_S1_PKiPfiiiiiiiiiiilll ; -- Begin function _Z12ssm_scan_f32ILm128ELm16ELm7EEvPKfS1_S1_S1_S1_S1_PKiPfiiiiiiiiiiilll
	.globl	_Z12ssm_scan_f32ILm128ELm16ELm7EEvPKfS1_S1_S1_S1_S1_PKiPfiiiiiiiiiiilll
	.p2align	8
	.type	_Z12ssm_scan_f32ILm128ELm16ELm7EEvPKfS1_S1_S1_S1_S1_PKiPfiiiiiiiiiiilll,@function
_Z12ssm_scan_f32ILm128ELm16ELm7EEvPKfS1_S1_S1_S1_S1_PKiPfiiiiiiiiiiilll: ; @_Z12ssm_scan_f32ILm128ELm16ELm7EEvPKfS1_S1_S1_S1_S1_PKiPfiiiiiiiiiiilll
; %bb.0:
	s_load_b512 s[16:31], s[0:1], 0x0
	s_mov_b32 s2, s15
	s_mov_b32 s15, 0
	v_dual_mov_b32 v2, 0 :: v_dual_lshlrev_b32 v55, 2, v0
	s_lshl_b64 s[4:5], s[14:15], 2
	s_load_b128 s[36:39], s[0:1], 0x60
	s_waitcnt lgkmcnt(0)
	s_add_u32 s12, s28, s4
	s_addc_u32 s13, s29, s5
	s_load_b256 s[4:11], s[0:1], 0x40
	s_load_b32 s3, s[12:13], 0x0
	s_waitcnt lgkmcnt(0)
	s_mul_i32 s3, s3, s5
	s_delay_alu instid0(SALU_CYCLE_1)
	s_ashr_i32 s12, s3, 31
	s_add_u32 s3, s16, s3
	s_addc_u32 s12, s17, s12
	s_lshl_b32 s13, s2, 7
	s_ashr_i32 s16, s4, 31
	s_lshr_b32 s17, s2, 25
	s_mul_i32 s16, s13, s16
	s_mul_hi_u32 s28, s13, s4
	s_mul_i32 s29, s17, s4
	s_add_i32 s16, s28, s16
	s_mul_i32 s28, s13, s4
	s_add_i32 s29, s16, s29
	s_add_u32 s3, s3, s28
	s_addc_u32 s12, s12, s29
	s_ashr_i32 s16, s10, 31
	s_mul_hi_u32 s33, s13, s10
	s_mul_i32 s16, s13, s16
	s_mul_i32 s17, s17, s10
	s_add_i32 s16, s33, s16
	s_mul_i32 s13, s13, s10
	s_add_i32 s16, s16, s17
	s_add_u32 s13, s22, s13
	s_addc_u32 s16, s23, s16
	s_ashr_i32 s10, s10, 2
	s_ashr_i32 s4, s4, 2
	v_mul_lo_u32 v1, s10, v0
	s_delay_alu instid0(VALU_DEP_1) | instskip(SKIP_2) | instid1(VALU_DEP_2)
	v_lshlrev_b64 v[3:4], 2, v[1:2]
	v_mul_lo_u32 v1, s4, v0
	s_mul_i32 s4, s14, s38
	v_add_co_u32 v13, vcc_lo, s13, v3
	s_delay_alu instid0(VALU_DEP_3) | instskip(NEXT) | instid1(VALU_DEP_3)
	v_add_co_ci_u32_e32 v14, vcc_lo, s16, v4, vcc_lo
	v_lshlrev_b64 v[41:42], 2, v[1:2]
	s_delay_alu instid0(VALU_DEP_1) | instskip(NEXT) | instid1(VALU_DEP_2)
	v_add_co_u32 v29, vcc_lo, s3, v41
	v_add_co_ci_u32_e32 v30, vcc_lo, s12, v42, vcc_lo
	s_clause 0x3
	global_load_b128 v[1:4], v[13:14], off offset:48
	global_load_b128 v[5:8], v[13:14], off offset:32
	;; [unrolled: 1-line block ×3, first 2 shown]
	global_load_b128 v[13:16], v[13:14], off
	s_clause 0x3
	global_load_b128 v[17:20], v[29:30], off offset:48
	global_load_b128 v[21:24], v[29:30], off offset:32
	;; [unrolled: 1-line block ×3, first 2 shown]
	global_load_b128 v[29:32], v[29:30], off
	s_mul_i32 s3, s14, s36
	v_cmp_gt_u32_e32 vcc_lo, 16, v0
	s_add_u32 s3, s24, s3
	s_addc_u32 s10, s25, 0
	s_add_u32 s4, s26, s4
	v_add_co_u32 v43, s3, s3, v55
	s_addc_u32 s12, s27, 0
	v_add_co_ci_u32_e64 v44, null, s10, 0, s3
	v_add_co_u32 v45, s3, s4, v55
	s_delay_alu instid0(VALU_DEP_1)
	v_add_co_ci_u32_e64 v46, null, s12, 0, s3
	v_add_nc_u32_e32 v0, 64, v55
	s_mov_b32 s3, s15
	s_and_saveexec_b32 s4, vcc_lo
	s_cbranch_execz .LBB8_2
; %bb.1:
	global_load_b32 v33, v[43:44], off
	global_load_b32 v34, v[45:46], off
	s_waitcnt vmcnt(1)
	ds_store_b32 v55, v33
	s_waitcnt vmcnt(0)
	ds_store_b32 v0, v34
.LBB8_2:
	s_or_b32 exec_lo, exec_lo, s4
	s_mul_i32 s4, s14, s9
	s_lshl_b64 s[12:13], s[2:3], 9
	s_add_u32 s2, s20, s4
	s_addc_u32 s3, s21, 0
	s_add_u32 s2, s2, s12
	s_addc_u32 s3, s3, s13
	s_waitcnt vmcnt(0) lgkmcnt(0)
	s_barrier
	buffer_gl0_inv
	global_load_b32 v35, v55, s[2:3]
	v_add_co_u32 v33, s2, s2, v55
	s_delay_alu instid0(VALU_DEP_1)
	v_add_co_ci_u32_e64 v34, null, s3, 0, s2
	s_mov_b32 s4, exec_lo
	s_waitcnt vmcnt(0)
	v_cmpx_ge_f32_e32 0x41a00000, v35
	s_cbranch_execz .LBB8_4
; %bb.3:
	v_mul_f32_e32 v36, 0x3fb8aa3b, v35
	v_cmp_ngt_f32_e64 s2, 0xc2ce8ed0, v35
	s_delay_alu instid0(VALU_DEP_2) | instskip(SKIP_1) | instid1(VALU_DEP_2)
	v_rndne_f32_e32 v37, v36
	v_fma_f32 v38, 0x3fb8aa3b, v35, -v36
	v_sub_f32_e32 v36, v36, v37
	s_delay_alu instid0(VALU_DEP_2) | instskip(SKIP_1) | instid1(VALU_DEP_2)
	v_fmamk_f32 v38, v35, 0x32a5705f, v38
	v_cvt_i32_f32_e32 v37, v37
	v_add_f32_e32 v36, v36, v38
	s_delay_alu instid0(VALU_DEP_1) | instskip(SKIP_2) | instid1(VALU_DEP_1)
	v_exp_f32_e32 v36, v36
	s_waitcnt_depctr 0xfff
	v_ldexp_f32 v36, v36, v37
	v_cndmask_b32_e64 v36, 0, v36, s2
	v_cmp_nlt_f32_e64 s2, 0x42b17218, v35
	s_delay_alu instid0(VALU_DEP_1) | instskip(NEXT) | instid1(VALU_DEP_1)
	v_cndmask_b32_e64 v37, 0x7f800000, v36, s2
	v_add_f32_e32 v38, 1.0, v37
	v_cmp_gt_f32_e64 s3, 0x33800000, v37
	s_delay_alu instid0(VALU_DEP_2) | instskip(NEXT) | instid1(VALU_DEP_1)
	v_cvt_f64_f32_e32 v[35:36], v38
	v_frexp_exp_i32_f64_e32 v35, v[35:36]
	v_frexp_mant_f32_e32 v36, v38
	s_delay_alu instid0(VALU_DEP_1) | instskip(SKIP_1) | instid1(VALU_DEP_1)
	v_cmp_gt_f32_e64 s2, 0x3f2aaaab, v36
	v_add_f32_e32 v36, -1.0, v38
	v_sub_f32_e32 v40, v36, v38
	v_sub_f32_e32 v36, v37, v36
	s_delay_alu instid0(VALU_DEP_2) | instskip(NEXT) | instid1(VALU_DEP_1)
	v_add_f32_e32 v40, 1.0, v40
	v_add_f32_e32 v36, v36, v40
	v_subrev_co_ci_u32_e64 v35, s2, 0, v35, s2
	s_mov_b32 s2, 0x3e9b6dac
	s_delay_alu instid0(VALU_DEP_1) | instskip(SKIP_1) | instid1(VALU_DEP_2)
	v_sub_nc_u32_e32 v39, 0, v35
	v_cvt_f32_i32_e32 v35, v35
	v_ldexp_f32 v38, v38, v39
	v_ldexp_f32 v36, v36, v39
	s_delay_alu instid0(VALU_DEP_2) | instskip(NEXT) | instid1(VALU_DEP_1)
	v_add_f32_e32 v47, 1.0, v38
	v_dual_add_f32 v39, -1.0, v38 :: v_dual_add_f32 v40, -1.0, v47
	s_delay_alu instid0(VALU_DEP_1) | instskip(NEXT) | instid1(VALU_DEP_2)
	v_add_f32_e32 v48, 1.0, v39
	v_sub_f32_e32 v40, v38, v40
	s_delay_alu instid0(VALU_DEP_2) | instskip(NEXT) | instid1(VALU_DEP_2)
	v_sub_f32_e32 v38, v38, v48
	v_add_f32_e32 v40, v36, v40
	s_delay_alu instid0(VALU_DEP_2) | instskip(NEXT) | instid1(VALU_DEP_2)
	v_add_f32_e32 v36, v36, v38
	v_add_f32_e32 v48, v47, v40
	s_delay_alu instid0(VALU_DEP_2) | instskip(NEXT) | instid1(VALU_DEP_2)
	v_add_f32_e32 v49, v39, v36
	v_rcp_f32_e32 v38, v48
	v_sub_f32_e32 v47, v47, v48
	s_delay_alu instid0(VALU_DEP_1) | instskip(NEXT) | instid1(VALU_DEP_1)
	v_dual_sub_f32 v39, v39, v49 :: v_dual_add_f32 v40, v40, v47
	v_add_f32_e32 v36, v36, v39
	s_waitcnt_depctr 0xfff
	v_mul_f32_e32 v50, v49, v38
	s_delay_alu instid0(VALU_DEP_1) | instskip(NEXT) | instid1(VALU_DEP_1)
	v_mul_f32_e32 v51, v48, v50
	v_fma_f32 v47, v50, v48, -v51
	s_delay_alu instid0(VALU_DEP_1) | instskip(NEXT) | instid1(VALU_DEP_1)
	v_fmac_f32_e32 v47, v50, v40
	v_add_f32_e32 v52, v51, v47
	s_delay_alu instid0(VALU_DEP_1) | instskip(SKIP_1) | instid1(VALU_DEP_2)
	v_sub_f32_e32 v53, v49, v52
	v_sub_f32_e32 v39, v52, v51
	;; [unrolled: 1-line block ×3, first 2 shown]
	s_delay_alu instid0(VALU_DEP_2) | instskip(NEXT) | instid1(VALU_DEP_2)
	v_sub_f32_e32 v39, v39, v47
	v_sub_f32_e32 v49, v49, v52
	s_delay_alu instid0(VALU_DEP_1) | instskip(NEXT) | instid1(VALU_DEP_1)
	v_add_f32_e32 v36, v36, v49
	v_add_f32_e32 v36, v39, v36
	s_delay_alu instid0(VALU_DEP_1) | instskip(NEXT) | instid1(VALU_DEP_1)
	v_add_f32_e32 v39, v53, v36
	v_mul_f32_e32 v47, v38, v39
	v_sub_f32_e32 v52, v53, v39
	s_delay_alu instid0(VALU_DEP_2) | instskip(NEXT) | instid1(VALU_DEP_2)
	v_mul_f32_e32 v49, v48, v47
	v_add_f32_e32 v36, v36, v52
	s_delay_alu instid0(VALU_DEP_2) | instskip(NEXT) | instid1(VALU_DEP_1)
	v_fma_f32 v48, v47, v48, -v49
	v_fmac_f32_e32 v48, v47, v40
	s_delay_alu instid0(VALU_DEP_1) | instskip(NEXT) | instid1(VALU_DEP_1)
	v_add_f32_e32 v40, v49, v48
	v_sub_f32_e32 v51, v39, v40
	v_sub_f32_e32 v49, v40, v49
	s_delay_alu instid0(VALU_DEP_2) | instskip(NEXT) | instid1(VALU_DEP_1)
	v_sub_f32_e32 v39, v39, v51
	v_sub_f32_e32 v39, v39, v40
	s_delay_alu instid0(VALU_DEP_3) | instskip(NEXT) | instid1(VALU_DEP_2)
	v_sub_f32_e32 v40, v49, v48
	v_add_f32_e32 v36, v36, v39
	s_delay_alu instid0(VALU_DEP_1) | instskip(NEXT) | instid1(VALU_DEP_1)
	v_dual_add_f32 v39, v50, v47 :: v_dual_add_f32 v36, v40, v36
	v_sub_f32_e32 v40, v39, v50
	s_delay_alu instid0(VALU_DEP_2) | instskip(NEXT) | instid1(VALU_DEP_2)
	v_add_f32_e32 v36, v51, v36
	v_sub_f32_e32 v40, v47, v40
	s_delay_alu instid0(VALU_DEP_2) | instskip(NEXT) | instid1(VALU_DEP_1)
	v_mul_f32_e32 v36, v38, v36
	v_add_f32_e32 v36, v40, v36
	s_delay_alu instid0(VALU_DEP_1) | instskip(NEXT) | instid1(VALU_DEP_1)
	v_add_f32_e32 v38, v39, v36
	v_mul_f32_e32 v40, v38, v38
	s_delay_alu instid0(VALU_DEP_1) | instskip(SKIP_2) | instid1(VALU_DEP_3)
	v_fmaak_f32 v47, s2, v40, 0x3ecc95a3
	v_mul_f32_e32 v48, v38, v40
	v_cmp_eq_f32_e64 s2, 0x7f800000, v37
	v_fmaak_f32 v40, v40, v47, 0x3f2aaada
	v_ldexp_f32 v47, v38, 1
	v_sub_f32_e32 v38, v38, v39
	s_delay_alu instid0(VALU_DEP_4) | instskip(NEXT) | instid1(VALU_DEP_3)
	s_or_b32 s2, s3, s2
	v_mul_f32_e32 v40, v48, v40
	v_mul_f32_e32 v48, 0x3f317218, v35
	s_delay_alu instid0(VALU_DEP_2) | instskip(NEXT) | instid1(VALU_DEP_1)
	v_dual_sub_f32 v36, v36, v38 :: v_dual_add_f32 v39, v47, v40
	v_ldexp_f32 v36, v36, 1
	s_delay_alu instid0(VALU_DEP_2) | instskip(NEXT) | instid1(VALU_DEP_4)
	v_sub_f32_e32 v38, v39, v47
	v_fma_f32 v47, 0x3f317218, v35, -v48
	s_delay_alu instid0(VALU_DEP_1) | instskip(NEXT) | instid1(VALU_DEP_1)
	v_dual_sub_f32 v38, v40, v38 :: v_dual_fmamk_f32 v35, v35, 0xb102e308, v47
	v_add_f32_e32 v36, v36, v38
	s_delay_alu instid0(VALU_DEP_2) | instskip(NEXT) | instid1(VALU_DEP_2)
	v_add_f32_e32 v38, v48, v35
	v_add_f32_e32 v40, v39, v36
	s_delay_alu instid0(VALU_DEP_2) | instskip(NEXT) | instid1(VALU_DEP_2)
	v_sub_f32_e32 v48, v38, v48
	v_add_f32_e32 v47, v38, v40
	v_sub_f32_e32 v39, v40, v39
	s_delay_alu instid0(VALU_DEP_3) | instskip(NEXT) | instid1(VALU_DEP_2)
	v_sub_f32_e32 v35, v35, v48
	v_dual_sub_f32 v49, v47, v38 :: v_dual_sub_f32 v36, v36, v39
	s_delay_alu instid0(VALU_DEP_1) | instskip(NEXT) | instid1(VALU_DEP_2)
	v_sub_f32_e32 v50, v47, v49
	v_dual_sub_f32 v39, v40, v49 :: v_dual_add_f32 v40, v35, v36
	s_delay_alu instid0(VALU_DEP_2) | instskip(NEXT) | instid1(VALU_DEP_1)
	v_sub_f32_e32 v38, v38, v50
	v_dual_add_f32 v38, v39, v38 :: v_dual_sub_f32 v39, v40, v35
	s_delay_alu instid0(VALU_DEP_1) | instskip(NEXT) | instid1(VALU_DEP_2)
	v_add_f32_e32 v38, v40, v38
	v_sub_f32_e32 v40, v40, v39
	v_sub_f32_e32 v36, v36, v39
	s_delay_alu instid0(VALU_DEP_3) | instskip(NEXT) | instid1(VALU_DEP_3)
	v_add_f32_e32 v48, v47, v38
	v_sub_f32_e32 v35, v35, v40
	s_delay_alu instid0(VALU_DEP_2) | instskip(NEXT) | instid1(VALU_DEP_2)
	v_sub_f32_e32 v39, v48, v47
	v_add_f32_e32 v35, v36, v35
	s_delay_alu instid0(VALU_DEP_2) | instskip(NEXT) | instid1(VALU_DEP_1)
	v_sub_f32_e32 v36, v38, v39
	v_add_f32_e32 v35, v35, v36
	s_delay_alu instid0(VALU_DEP_1) | instskip(NEXT) | instid1(VALU_DEP_1)
	v_add_f32_e32 v35, v48, v35
	v_cndmask_b32_e64 v35, v35, v37, s2
.LBB8_4:
	s_or_b32 exec_lo, exec_lo, s4
	s_load_b128 s[20:23], s[0:1], 0x70
	s_mul_i32 s0, s14, s7
	s_delay_alu instid0(VALU_DEP_1) | instskip(NEXT) | instid1(VALU_DEP_1)
	v_dual_mov_b32 v52, 0 :: v_dual_mul_f32 v39, v35, v15
	v_dual_mul_f32 v36, v35, v13 :: v_dual_mul_f32 v95, 0x3fb8aa3b, v39
	s_delay_alu instid0(VALU_DEP_1) | instskip(SKIP_1) | instid1(VALU_DEP_3)
	v_dual_mul_f32 v38, v35, v14 :: v_dual_mul_f32 v93, 0x3fb8aa3b, v36
	v_mul_f32_e32 v47, v35, v9
	v_fma_f32 v112, 0x3fb8aa3b, v39, -v95
	s_delay_alu instid0(VALU_DEP_3) | instskip(NEXT) | instid1(VALU_DEP_3)
	v_mul_f32_e32 v94, 0x3fb8aa3b, v38
	v_dual_mul_f32 v40, v35, v16 :: v_dual_mul_f32 v97, 0x3fb8aa3b, v47
	v_mul_f32_e32 v49, v35, v11
	v_rndne_f32_e32 v109, v93
	v_mul_f32_e32 v92, v35, v4
	s_waitcnt lgkmcnt(0)
	s_mul_i32 s1, s14, s23
	s_mul_hi_u32 s2, s14, s22
	s_mul_i32 s3, s14, s22
	s_add_i32 s1, s2, s1
	s_mul_hi_u32 s2, s3, 28
	s_mul_i32 s1, s1, 28
	s_mul_i32 s3, s3, 28
	s_add_i32 s2, s2, s1
	s_add_u32 s1, s30, s3
	s_addc_u32 s3, s31, s2
	s_ashr_i32 s2, s11, 2
	s_add_u32 s0, s18, s0
	s_addc_u32 s4, s19, 0
	s_add_u32 s16, s0, s12
	s_addc_u32 s17, s4, s13
	v_mul_f32_e32 v96, 0x3fb8aa3b, v40
	global_load_b32 v37, v55, s[16:17]
	v_dual_mul_f32 v48, v35, v10 :: v_dual_mul_f32 v99, 0x3fb8aa3b, v49
	v_mul_f32_e32 v51, v35, v5
	ds_load_b128 v[56:59], v52
	ds_load_b128 v[60:63], v52 offset:16
	ds_load_b128 v[64:67], v52 offset:32
	ds_load_b128 v[68:71], v52 offset:48
	ds_load_b128 v[72:75], v52 offset:64
	ds_load_b128 v[76:79], v52 offset:80
	ds_load_b128 v[80:83], v52 offset:96
	ds_load_b128 v[84:87], v52 offset:112
	v_fma_f32 v52, 0x3fb8aa3b, v36, -v93
	v_mul_f32_e32 v98, 0x3fb8aa3b, v48
	v_dual_mul_f32 v50, v35, v12 :: v_dual_mul_f32 v101, 0x3fb8aa3b, v51
	v_mul_f32_e32 v89, v35, v1
	v_fma_f32 v110, 0x3fb8aa3b, v38, -v94
	v_rndne_f32_e32 v111, v94
	s_delay_alu instid0(VALU_DEP_4) | instskip(NEXT) | instid1(VALU_DEP_4)
	v_mul_f32_e32 v100, 0x3fb8aa3b, v50
	v_dual_mul_f32 v54, v35, v7 :: v_dual_mul_f32 v105, 0x3fb8aa3b, v89
	v_mul_f32_e32 v88, v35, v8
	v_rndne_f32_e32 v121, v99
	v_fmac_f32_e32 v52, 0x32a5705f, v36
	s_delay_alu instid0(VALU_DEP_4) | instskip(NEXT) | instid1(VALU_DEP_4)
	v_mul_f32_e32 v103, 0x3fb8aa3b, v54
	v_dual_mul_f32 v53, v35, v6 :: v_dual_mul_f32 v104, 0x3fb8aa3b, v88
	v_sub_f32_e32 v93, v93, v109
	v_mul_f32_e32 v91, v35, v3
	v_rndne_f32_e32 v113, v95
	s_delay_alu instid0(VALU_DEP_4)
	v_mul_f32_e32 v102, 0x3fb8aa3b, v53
	v_mul_f32_e32 v90, v35, v2
	v_rndne_f32_e32 v115, v96
	v_mul_f32_e32 v107, 0x3fb8aa3b, v91
	v_fma_f32 v120, 0x3fb8aa3b, v49, -v99
	v_rndne_f32_e32 v125, v101
	v_rndne_f32_e32 v129, v103
	v_fmac_f32_e32 v110, 0x32a5705f, v38
	v_dual_sub_f32 v94, v94, v111 :: v_dual_sub_f32 v99, v99, v121
	v_add_f32_e32 v52, v93, v52
	v_dual_mul_f32 v106, 0x3fb8aa3b, v90 :: v_dual_sub_f32 v95, v95, v113
	v_fma_f32 v114, 0x3fb8aa3b, v40, -v96
	v_fma_f32 v124, 0x3fb8aa3b, v51, -v101
	;; [unrolled: 1-line block ×3, first 2 shown]
	v_rndne_f32_e32 v133, v105
	v_dual_fmac_f32 v112, 0x32a5705f, v39 :: v_dual_sub_f32 v101, v101, v125
	v_dual_sub_f32 v103, v103, v129 :: v_dual_sub_f32 v96, v96, v115
	v_add_f32_e32 v93, v94, v110
	v_exp_f32_e32 v52, v52
	v_fma_f32 v116, 0x3fb8aa3b, v47, -v97
	v_rndne_f32_e32 v117, v97
	v_mul_f32_e32 v108, 0x3fb8aa3b, v92
	v_fma_f32 v132, 0x3fb8aa3b, v89, -v105
	v_rndne_f32_e32 v137, v107
	v_dual_fmac_f32 v114, 0x32a5705f, v40 :: v_dual_sub_f32 v105, v105, v133
	v_cvt_i32_f32_e32 v109, v109
	v_add_f32_e32 v94, v95, v112
	v_exp_f32_e32 v93, v93
	v_fma_f32 v118, 0x3fb8aa3b, v48, -v98
	v_rndne_f32_e32 v119, v98
	v_fma_f32 v122, 0x3fb8aa3b, v50, -v100
	v_rndne_f32_e32 v123, v100
	;; [unrolled: 2-line block ×4, first 2 shown]
	v_fma_f32 v136, 0x3fb8aa3b, v91, -v107
	v_sub_f32_e32 v97, v97, v117
	v_fma_f32 v138, 0x3fb8aa3b, v92, -v108
	v_rndne_f32_e32 v139, v108
	v_dual_sub_f32 v107, v107, v137 :: v_dual_fmac_f32 v116, 0x32a5705f, v47
	v_add_f32_e32 v95, v96, v114
	v_cvt_i32_f32_e32 v111, v111
	v_exp_f32_e32 v94, v94
	v_ldexp_f32 v52, v52, v109
	v_cmp_ngt_f32_e64 s0, 0xc2ce8ed0, v36
	v_fmac_f32_e32 v122, 0x32a5705f, v50
	v_sub_f32_e32 v102, v102, v127
	v_fmac_f32_e32 v130, 0x32a5705f, v88
	v_sub_f32_e32 v104, v104, v131
	v_sub_f32_e32 v98, v98, v119
	v_fmac_f32_e32 v138, 0x32a5705f, v92
	v_sub_f32_e32 v108, v108, v139
	v_fmac_f32_e32 v126, 0x32a5705f, v53
	;; [unrolled: 2-line block ×3, first 2 shown]
	v_cvt_i32_f32_e32 v113, v113
	v_add_f32_e32 v96, v97, v116
	v_exp_f32_e32 v95, v95
	v_ldexp_f32 v93, v93, v111
	v_cndmask_b32_e64 v52, 0, v52, s0
	v_cmp_ngt_f32_e64 s0, 0xc2ce8ed0, v38
	v_dual_fmac_f32 v120, 0x32a5705f, v49 :: v_dual_add_f32 v97, v98, v118
	v_cvt_i32_f32_e32 v115, v115
	v_exp_f32_e32 v96, v96
	v_ldexp_f32 v94, v94, v113
	v_cndmask_b32_e64 v93, 0, v93, s0
	v_cmp_ngt_f32_e64 s0, 0xc2ce8ed0, v39
	v_fma_f32 v134, 0x3fb8aa3b, v90, -v106
	v_rndne_f32_e32 v135, v106
	v_cvt_i32_f32_e32 v117, v117
	v_add_f32_e32 v98, v99, v120
	v_exp_f32_e32 v97, v97
	v_ldexp_f32 v95, v95, v115
	v_cndmask_b32_e64 v94, 0, v94, s0
	v_cmp_ngt_f32_e64 s0, 0xc2ce8ed0, v40
	v_fmac_f32_e32 v134, 0x32a5705f, v90
	v_sub_f32_e32 v106, v106, v135
	v_fmac_f32_e32 v124, 0x32a5705f, v51
	v_cvt_i32_f32_e32 v119, v119
	v_add_f32_e32 v99, v100, v122
	v_exp_f32_e32 v98, v98
	v_ldexp_f32 v96, v96, v117
	v_cndmask_b32_e64 v95, 0, v95, s0
	v_cmp_ngt_f32_e64 s0, 0xc2ce8ed0, v47
	v_cvt_i32_f32_e32 v121, v121
	v_add_f32_e32 v100, v101, v124
	v_exp_f32_e32 v99, v99
	v_ldexp_f32 v97, v97, v119
	v_cndmask_b32_e64 v96, 0, v96, s0
	v_cmp_ngt_f32_e64 s0, 0xc2ce8ed0, v48
	v_fmac_f32_e32 v128, 0x32a5705f, v54
	v_cvt_i32_f32_e32 v123, v123
	v_add_f32_e32 v101, v102, v126
	v_exp_f32_e32 v100, v100
	v_ldexp_f32 v98, v98, v121
	v_cndmask_b32_e64 v97, 0, v97, s0
	v_cmp_ngt_f32_e64 s0, 0xc2ce8ed0, v49
	v_cvt_i32_f32_e32 v125, v125
	v_add_f32_e32 v102, v103, v128
	v_exp_f32_e32 v101, v101
	v_ldexp_f32 v99, v99, v123
	v_cndmask_b32_e64 v98, 0, v98, s0
	v_cmp_ngt_f32_e64 s0, 0xc2ce8ed0, v50
	;; [unrolled: 13-line block ×4, first 2 shown]
	v_cvt_i32_f32_e32 v135, v135
	v_exp_f32_e32 v106, v106
	v_ldexp_f32 v104, v104, v133
	v_cvt_i32_f32_e32 v137, v137
	v_cndmask_b32_e64 v103, 0, v103, s0
	v_cmp_ngt_f32_e64 s0, 0xc2ce8ed0, v89
	v_add_f32_e32 v107, v108, v138
	v_ldexp_f32 v105, v105, v135
	v_cvt_i32_f32_e32 v139, v139
	s_delay_alu instid0(VALU_DEP_4) | instskip(SKIP_3) | instid1(VALU_DEP_2)
	v_cndmask_b32_e64 v104, 0, v104, s0
	v_cmp_ngt_f32_e64 s0, 0xc2ce8ed0, v90
	v_exp_f32_e32 v107, v107
	v_ldexp_f32 v106, v106, v137
	v_cndmask_b32_e64 v105, 0, v105, s0
	v_cmp_ngt_f32_e64 s0, 0xc2ce8ed0, v91
	s_waitcnt_depctr 0xfff
	v_ldexp_f32 v107, v107, v139
	s_waitcnt vmcnt(0)
	v_mul_f32_e32 v108, v35, v37
	v_cndmask_b32_e64 v37, 0, v106, s0
	v_cmp_nlt_f32_e64 s0, 0x42b17218, v36
	s_waitcnt lgkmcnt(7)
	s_delay_alu instid0(VALU_DEP_3) | instskip(NEXT) | instid1(VALU_DEP_2)
	v_mul_f32_e32 v35, v108, v56
	v_cndmask_b32_e64 v36, 0x7f800000, v52, s0
	v_cmp_ngt_f32_e64 s0, 0xc2ce8ed0, v92
	s_delay_alu instid0(VALU_DEP_2) | instskip(NEXT) | instid1(VALU_DEP_2)
	v_fmac_f32_e32 v35, v29, v36
	v_cndmask_b32_e64 v52, 0, v107, s0
	v_cmp_nlt_f32_e64 s0, 0x42b17218, v38
	v_mul_f32_e32 v38, v108, v57
	v_mul_f32_e32 v29, v108, v58
	s_delay_alu instid0(VALU_DEP_3) | instskip(SKIP_3) | instid1(VALU_DEP_3)
	v_cndmask_b32_e64 v56, 0x7f800000, v93, s0
	v_cmp_nlt_f32_e64 s0, 0x42b17218, v39
	s_waitcnt lgkmcnt(3)
	v_fma_f32 v39, v72, v35, 0
	v_fmac_f32_e32 v38, v30, v56
	s_delay_alu instid0(VALU_DEP_3) | instskip(SKIP_1) | instid1(VALU_DEP_3)
	v_cndmask_b32_e64 v36, 0x7f800000, v94, s0
	v_cmp_nlt_f32_e64 s0, 0x42b17218, v40
	v_dual_mul_f32 v30, v108, v59 :: v_dual_fmac_f32 v39, v73, v38
	s_delay_alu instid0(VALU_DEP_3) | instskip(NEXT) | instid1(VALU_DEP_3)
	v_fmac_f32_e32 v29, v31, v36
	v_cndmask_b32_e64 v40, 0x7f800000, v95, s0
	v_cmp_nlt_f32_e64 s0, 0x42b17218, v47
	v_mul_f32_e32 v31, v108, v60
	s_delay_alu instid0(VALU_DEP_3) | instskip(NEXT) | instid1(VALU_DEP_3)
	v_dual_fmac_f32 v39, v74, v29 :: v_dual_fmac_f32 v30, v32, v40
	v_cndmask_b32_e64 v36, 0x7f800000, v96, s0
	v_cmp_nlt_f32_e64 s0, 0x42b17218, v48
	s_delay_alu instid0(VALU_DEP_3) | instskip(NEXT) | instid1(VALU_DEP_3)
	v_dual_mul_f32 v32, v108, v61 :: v_dual_fmac_f32 v39, v75, v30
	v_fmac_f32_e32 v31, v25, v36
	s_delay_alu instid0(VALU_DEP_3) | instskip(SKIP_2) | instid1(VALU_DEP_2)
	v_cndmask_b32_e64 v40, 0x7f800000, v97, s0
	v_cmp_nlt_f32_e64 s0, 0x42b17218, v49
	s_waitcnt lgkmcnt(2)
	v_dual_fmac_f32 v39, v76, v31 :: v_dual_fmac_f32 v32, v26, v40
	s_delay_alu instid0(VALU_DEP_2) | instskip(SKIP_1) | instid1(VALU_DEP_3)
	v_cndmask_b32_e64 v36, 0x7f800000, v98, s0
	v_cmp_nlt_f32_e64 s0, 0x42b17218, v50
	v_fmac_f32_e32 v39, v77, v32
	v_mul_f32_e32 v25, v108, v62
	s_delay_alu instid0(VALU_DEP_3) | instskip(SKIP_2) | instid1(VALU_DEP_4)
	v_cndmask_b32_e64 v40, 0x7f800000, v99, s0
	v_mul_f32_e32 v26, v108, v63
	v_cmp_nlt_f32_e64 s0, 0x42b17218, v51
	v_fmac_f32_e32 v25, v27, v36
	v_mul_f32_e32 v27, v108, v64
	s_delay_alu instid0(VALU_DEP_4) | instskip(NEXT) | instid1(VALU_DEP_4)
	v_fmac_f32_e32 v26, v28, v40
	v_cndmask_b32_e64 v36, 0x7f800000, v100, s0
	v_cmp_nlt_f32_e64 s0, 0x42b17218, v53
	v_fmac_f32_e32 v39, v78, v25
	s_delay_alu instid0(VALU_DEP_3) | instskip(NEXT) | instid1(VALU_DEP_3)
	v_dual_mul_f32 v28, v108, v65 :: v_dual_fmac_f32 v27, v21, v36
	v_cndmask_b32_e64 v40, 0x7f800000, v101, s0
	s_delay_alu instid0(VALU_DEP_3) | instskip(SKIP_3) | instid1(VALU_DEP_3)
	v_fmac_f32_e32 v39, v79, v26
	v_cmp_nlt_f32_e64 s0, 0x42b17218, v54
	v_mul_f32_e32 v36, v108, v66
	s_waitcnt lgkmcnt(1)
	v_dual_fmac_f32 v28, v22, v40 :: v_dual_fmac_f32 v39, v80, v27
	s_delay_alu instid0(VALU_DEP_3) | instskip(SKIP_1) | instid1(VALU_DEP_3)
	v_cndmask_b32_e64 v21, 0x7f800000, v102, s0
	v_cmp_nlt_f32_e64 s0, 0x42b17218, v88
	v_dual_mul_f32 v22, v108, v67 :: v_dual_fmac_f32 v39, v81, v28
	s_delay_alu instid0(VALU_DEP_3) | instskip(NEXT) | instid1(VALU_DEP_3)
	v_fmac_f32_e32 v36, v23, v21
	v_cndmask_b32_e64 v40, 0x7f800000, v103, s0
	v_cmp_nlt_f32_e64 s0, 0x42b17218, v89
	v_mul_f32_e32 v23, v108, v68
	s_delay_alu instid0(VALU_DEP_4) | instskip(NEXT) | instid1(VALU_DEP_4)
	v_fmac_f32_e32 v39, v82, v36
	v_fmac_f32_e32 v22, v24, v40
	s_delay_alu instid0(VALU_DEP_4) | instskip(SKIP_1) | instid1(VALU_DEP_3)
	v_cndmask_b32_e64 v21, 0x7f800000, v104, s0
	v_cmp_nlt_f32_e64 s0, 0x42b17218, v90
	v_dual_mul_f32 v24, v108, v69 :: v_dual_fmac_f32 v39, v83, v22
	s_delay_alu instid0(VALU_DEP_3) | instskip(NEXT) | instid1(VALU_DEP_3)
	v_fmac_f32_e32 v23, v17, v21
	v_cndmask_b32_e64 v40, 0x7f800000, v105, s0
	v_cmp_nlt_f32_e64 s0, 0x42b17218, v91
	v_mul_f32_e32 v21, v108, v71
	s_waitcnt lgkmcnt(0)
	s_delay_alu instid0(VALU_DEP_3) | instskip(NEXT) | instid1(VALU_DEP_3)
	v_dual_fmac_f32 v39, v84, v23 :: v_dual_fmac_f32 v24, v18, v40
	v_cndmask_b32_e64 v17, 0x7f800000, v37, s0
	v_mul_f32_e32 v37, v108, v70
	v_cmp_nlt_f32_e64 s0, 0x42b17218, v92
	s_delay_alu instid0(VALU_DEP_4) | instskip(NEXT) | instid1(VALU_DEP_3)
	v_fmac_f32_e32 v39, v85, v24
	v_fmac_f32_e32 v37, v19, v17
	s_delay_alu instid0(VALU_DEP_3) | instskip(SKIP_3) | instid1(VALU_DEP_2)
	v_cndmask_b32_e64 v18, 0x7f800000, v52, s0
	s_add_u32 s0, s1, s12
	s_addc_u32 s1, s3, s13
	v_add_co_u32 v49, s3, s16, v55
	v_fmac_f32_e32 v21, v20, v18
	v_fmac_f32_e32 v39, v86, v37
	v_add_co_u32 v47, s4, s0, v55
	v_add_co_ci_u32_e64 v50, null, s17, 0, s3
	s_delay_alu instid0(VALU_DEP_3)
	v_fmac_f32_e32 v39, v87, v21
	v_add_co_ci_u32_e64 v48, null, s1, 0, s4
	s_ashr_i32 s10, s37, 2
	s_ashr_i32 s3, s2, 31
	;; [unrolled: 1-line block ×3, first 2 shown]
	global_store_b32 v55, v39, s[0:1]
	s_waitcnt_vscnt null, 0x0
	s_barrier
	buffer_gl0_inv
	s_and_saveexec_b32 s1, vcc_lo
	s_cbranch_execz .LBB8_6
; %bb.5:
	s_lshl_b64 s[12:13], s[2:3], 2
	s_delay_alu instid0(SALU_CYCLE_1) | instskip(NEXT) | instid1(VALU_DEP_1)
	v_add_co_u32 v17, s0, v43, s12
	v_add_co_ci_u32_e64 v18, s0, s13, v44, s0
	s_lshl_b64 s[12:13], s[10:11], 2
	s_delay_alu instid0(SALU_CYCLE_1) | instskip(NEXT) | instid1(VALU_DEP_1)
	v_add_co_u32 v19, s0, v45, s12
	v_add_co_ci_u32_e64 v20, s0, s13, v46, s0
	global_load_b32 v17, v[17:18], off
	global_load_b32 v18, v[19:20], off
	s_waitcnt vmcnt(1)
	ds_store_b32 v55, v17
	s_waitcnt vmcnt(0)
	ds_store_b32 v0, v18
.LBB8_6:
	s_or_b32 exec_lo, exec_lo, s1
	s_ashr_i32 s0, s8, 2
	s_waitcnt lgkmcnt(0)
	s_ashr_i32 s1, s0, 31
	s_barrier
	s_lshl_b64 s[8:9], s[0:1], 2
	buffer_gl0_inv
	v_add_co_u32 v17, s0, v33, s8
	s_delay_alu instid0(VALU_DEP_1)
	v_add_co_ci_u32_e64 v18, s0, s9, v34, s0
	s_mov_b32 s4, exec_lo
	global_load_b32 v33, v[17:18], off
	s_waitcnt vmcnt(0)
	v_cmpx_ge_f32_e32 0x41a00000, v33
	s_cbranch_execz .LBB8_8
; %bb.7:
	v_mul_f32_e32 v19, 0x3fb8aa3b, v33
	v_cmp_ngt_f32_e64 s0, 0xc2ce8ed0, v33
	s_delay_alu instid0(VALU_DEP_2) | instskip(SKIP_1) | instid1(VALU_DEP_1)
	v_rndne_f32_e32 v20, v19
	v_fma_f32 v34, 0x3fb8aa3b, v33, -v19
	v_dual_sub_f32 v19, v19, v20 :: v_dual_fmamk_f32 v34, v33, 0x32a5705f, v34
	v_cvt_i32_f32_e32 v20, v20
	s_delay_alu instid0(VALU_DEP_2) | instskip(NEXT) | instid1(VALU_DEP_1)
	v_add_f32_e32 v19, v19, v34
	v_exp_f32_e32 v19, v19
	s_waitcnt_depctr 0xfff
	v_ldexp_f32 v19, v19, v20
	s_delay_alu instid0(VALU_DEP_1) | instskip(SKIP_1) | instid1(VALU_DEP_1)
	v_cndmask_b32_e64 v19, 0, v19, s0
	v_cmp_nlt_f32_e64 s0, 0x42b17218, v33
	v_cndmask_b32_e64 v33, 0x7f800000, v19, s0
	s_delay_alu instid0(VALU_DEP_1) | instskip(SKIP_1) | instid1(VALU_DEP_2)
	v_add_f32_e32 v34, 1.0, v33
	v_cmp_gt_f32_e64 s1, 0x33800000, v33
	v_cvt_f64_f32_e32 v[19:20], v34
	s_delay_alu instid0(VALU_DEP_1) | instskip(SKIP_1) | instid1(VALU_DEP_1)
	v_frexp_exp_i32_f64_e32 v19, v[19:20]
	v_frexp_mant_f32_e32 v20, v34
	v_cmp_gt_f32_e64 s0, 0x3f2aaaab, v20
	v_add_f32_e32 v20, -1.0, v34
	s_delay_alu instid0(VALU_DEP_1) | instskip(NEXT) | instid1(VALU_DEP_3)
	v_sub_f32_e32 v40, v20, v34
	v_subrev_co_ci_u32_e64 v19, s0, 0, v19, s0
	s_mov_b32 s0, 0x3e9b6dac
	s_delay_alu instid0(VALU_DEP_1) | instskip(SKIP_1) | instid1(VALU_DEP_2)
	v_sub_nc_u32_e32 v39, 0, v19
	v_cvt_f32_i32_e32 v19, v19
	v_ldexp_f32 v34, v34, v39
	v_sub_f32_e32 v20, v33, v20
	s_delay_alu instid0(VALU_DEP_2) | instskip(NEXT) | instid1(VALU_DEP_1)
	v_dual_add_f32 v40, 1.0, v40 :: v_dual_add_f32 v51, 1.0, v34
	v_add_f32_e32 v20, v20, v40
	s_delay_alu instid0(VALU_DEP_2) | instskip(NEXT) | instid1(VALU_DEP_2)
	v_add_f32_e32 v40, -1.0, v51
	v_ldexp_f32 v20, v20, v39
	s_delay_alu instid0(VALU_DEP_2) | instskip(NEXT) | instid1(VALU_DEP_1)
	v_dual_add_f32 v39, -1.0, v34 :: v_dual_sub_f32 v40, v34, v40
	v_add_f32_e32 v52, 1.0, v39
	s_delay_alu instid0(VALU_DEP_2) | instskip(NEXT) | instid1(VALU_DEP_2)
	v_add_f32_e32 v40, v20, v40
	v_sub_f32_e32 v34, v34, v52
	s_delay_alu instid0(VALU_DEP_2) | instskip(NEXT) | instid1(VALU_DEP_2)
	v_add_f32_e32 v52, v51, v40
	v_add_f32_e32 v20, v20, v34
	s_delay_alu instid0(VALU_DEP_2) | instskip(SKIP_1) | instid1(VALU_DEP_1)
	v_rcp_f32_e32 v34, v52
	v_sub_f32_e32 v51, v51, v52
	v_dual_add_f32 v53, v39, v20 :: v_dual_add_f32 v40, v40, v51
	s_waitcnt_depctr 0xfff
	v_dual_sub_f32 v39, v39, v53 :: v_dual_mul_f32 v54, v53, v34
	s_delay_alu instid0(VALU_DEP_1) | instskip(NEXT) | instid1(VALU_DEP_2)
	v_add_f32_e32 v20, v20, v39
	v_mul_f32_e32 v56, v52, v54
	s_delay_alu instid0(VALU_DEP_1) | instskip(NEXT) | instid1(VALU_DEP_1)
	v_fma_f32 v51, v54, v52, -v56
	v_fmac_f32_e32 v51, v54, v40
	s_delay_alu instid0(VALU_DEP_1) | instskip(NEXT) | instid1(VALU_DEP_1)
	v_add_f32_e32 v57, v56, v51
	v_sub_f32_e32 v58, v53, v57
	v_sub_f32_e32 v39, v57, v56
	s_delay_alu instid0(VALU_DEP_2) | instskip(NEXT) | instid1(VALU_DEP_2)
	v_sub_f32_e32 v53, v53, v58
	v_sub_f32_e32 v39, v39, v51
	s_delay_alu instid0(VALU_DEP_2) | instskip(NEXT) | instid1(VALU_DEP_1)
	v_sub_f32_e32 v53, v53, v57
	v_add_f32_e32 v20, v20, v53
	s_delay_alu instid0(VALU_DEP_1) | instskip(NEXT) | instid1(VALU_DEP_1)
	v_add_f32_e32 v20, v39, v20
	v_add_f32_e32 v39, v58, v20
	s_delay_alu instid0(VALU_DEP_1) | instskip(NEXT) | instid1(VALU_DEP_1)
	v_mul_f32_e32 v51, v34, v39
	v_mul_f32_e32 v53, v52, v51
	v_sub_f32_e32 v57, v58, v39
	s_delay_alu instid0(VALU_DEP_2) | instskip(NEXT) | instid1(VALU_DEP_1)
	v_fma_f32 v52, v51, v52, -v53
	v_fmac_f32_e32 v52, v51, v40
	s_delay_alu instid0(VALU_DEP_1) | instskip(NEXT) | instid1(VALU_DEP_1)
	v_add_f32_e32 v40, v53, v52
	v_dual_sub_f32 v56, v39, v40 :: v_dual_sub_f32 v53, v40, v53
	s_delay_alu instid0(VALU_DEP_1) | instskip(NEXT) | instid1(VALU_DEP_1)
	v_dual_add_f32 v20, v20, v57 :: v_dual_sub_f32 v39, v39, v56
	v_sub_f32_e32 v39, v39, v40
	s_delay_alu instid0(VALU_DEP_1) | instskip(NEXT) | instid1(VALU_DEP_4)
	v_add_f32_e32 v20, v20, v39
	v_dual_add_f32 v39, v54, v51 :: v_dual_sub_f32 v40, v53, v52
	s_delay_alu instid0(VALU_DEP_1) | instskip(NEXT) | instid1(VALU_DEP_2)
	v_add_f32_e32 v20, v40, v20
	v_sub_f32_e32 v40, v39, v54
	s_delay_alu instid0(VALU_DEP_2) | instskip(NEXT) | instid1(VALU_DEP_2)
	v_add_f32_e32 v20, v56, v20
	v_sub_f32_e32 v40, v51, v40
	s_delay_alu instid0(VALU_DEP_2) | instskip(NEXT) | instid1(VALU_DEP_1)
	v_mul_f32_e32 v20, v34, v20
	v_add_f32_e32 v20, v40, v20
	s_delay_alu instid0(VALU_DEP_1) | instskip(NEXT) | instid1(VALU_DEP_1)
	v_add_f32_e32 v34, v39, v20
	v_mul_f32_e32 v40, v34, v34
	s_delay_alu instid0(VALU_DEP_1) | instskip(SKIP_2) | instid1(VALU_DEP_3)
	v_fmaak_f32 v51, s0, v40, 0x3ecc95a3
	v_mul_f32_e32 v52, v34, v40
	v_cmp_eq_f32_e64 s0, 0x7f800000, v33
	v_fmaak_f32 v40, v40, v51, 0x3f2aaada
	v_ldexp_f32 v51, v34, 1
	v_sub_f32_e32 v34, v34, v39
	s_delay_alu instid0(VALU_DEP_4) | instskip(NEXT) | instid1(VALU_DEP_3)
	s_or_b32 s0, s1, s0
	v_mul_f32_e32 v40, v52, v40
	s_delay_alu instid0(VALU_DEP_1) | instskip(NEXT) | instid1(VALU_DEP_1)
	v_dual_sub_f32 v20, v20, v34 :: v_dual_add_f32 v39, v51, v40
	v_ldexp_f32 v20, v20, 1
	s_delay_alu instid0(VALU_DEP_2) | instskip(NEXT) | instid1(VALU_DEP_1)
	v_sub_f32_e32 v34, v39, v51
	v_sub_f32_e32 v34, v40, v34
	s_delay_alu instid0(VALU_DEP_1) | instskip(NEXT) | instid1(VALU_DEP_1)
	v_add_f32_e32 v20, v20, v34
	v_add_f32_e32 v40, v39, v20
	v_mul_f32_e32 v52, 0x3f317218, v19
	s_delay_alu instid0(VALU_DEP_2) | instskip(NEXT) | instid1(VALU_DEP_2)
	v_sub_f32_e32 v39, v40, v39
	v_fma_f32 v51, 0x3f317218, v19, -v52
	s_delay_alu instid0(VALU_DEP_1) | instskip(NEXT) | instid1(VALU_DEP_1)
	v_dual_sub_f32 v20, v20, v39 :: v_dual_fmamk_f32 v19, v19, 0xb102e308, v51
	v_add_f32_e32 v34, v52, v19
	s_delay_alu instid0(VALU_DEP_1) | instskip(NEXT) | instid1(VALU_DEP_1)
	v_add_f32_e32 v51, v34, v40
	v_dual_sub_f32 v52, v34, v52 :: v_dual_sub_f32 v53, v51, v34
	s_delay_alu instid0(VALU_DEP_1) | instskip(NEXT) | instid1(VALU_DEP_2)
	v_sub_f32_e32 v19, v19, v52
	v_sub_f32_e32 v54, v51, v53
	s_delay_alu instid0(VALU_DEP_2) | instskip(NEXT) | instid1(VALU_DEP_2)
	v_dual_sub_f32 v39, v40, v53 :: v_dual_add_f32 v40, v19, v20
	v_sub_f32_e32 v34, v34, v54
	s_delay_alu instid0(VALU_DEP_1) | instskip(NEXT) | instid1(VALU_DEP_1)
	v_dual_add_f32 v34, v39, v34 :: v_dual_sub_f32 v39, v40, v19
	v_add_f32_e32 v34, v40, v34
	s_delay_alu instid0(VALU_DEP_2) | instskip(SKIP_1) | instid1(VALU_DEP_3)
	v_sub_f32_e32 v40, v40, v39
	v_sub_f32_e32 v20, v20, v39
	v_add_f32_e32 v52, v51, v34
	s_delay_alu instid0(VALU_DEP_3) | instskip(NEXT) | instid1(VALU_DEP_2)
	v_sub_f32_e32 v19, v19, v40
	v_sub_f32_e32 v39, v52, v51
	s_delay_alu instid0(VALU_DEP_2) | instskip(NEXT) | instid1(VALU_DEP_2)
	v_add_f32_e32 v19, v20, v19
	v_sub_f32_e32 v20, v34, v39
	s_delay_alu instid0(VALU_DEP_1) | instskip(NEXT) | instid1(VALU_DEP_1)
	v_add_f32_e32 v19, v19, v20
	v_add_f32_e32 v19, v52, v19
	s_delay_alu instid0(VALU_DEP_1)
	v_cndmask_b32_e64 v33, v19, v33, s0
.LBB8_8:
	s_or_b32 exec_lo, exec_lo, s4
	s_ashr_i32 s6, s6, 2
	s_delay_alu instid0(VALU_DEP_1)
	v_dual_mov_b32 v54, 0 :: v_dual_mul_f32 v51, v33, v15
	s_ashr_i32 s7, s6, 31
	v_mul_f32_e32 v34, v33, v13
	s_lshl_b64 s[16:17], s[6:7], 2
	v_mul_f32_e32 v53, v33, v9
	v_add_co_u32 v19, s0, v49, s16
	s_delay_alu instid0(VALU_DEP_1) | instskip(NEXT) | instid1(VALU_DEP_3)
	v_add_co_ci_u32_e64 v20, s0, s17, v50, s0
	v_dual_mul_f32 v40, v33, v14 :: v_dual_mul_f32 v103, 0x3fb8aa3b, v53
	v_mul_f32_e32 v101, 0x3fb8aa3b, v51
	global_load_b32 v39, v[19:20], off
	v_dual_mul_f32 v52, v33, v16 :: v_dual_mul_f32 v71, 0x3fb8aa3b, v34
	v_dual_mul_f32 v69, v33, v11 :: v_dual_mul_f32 v100, 0x3fb8aa3b, v40
	ds_load_b128 v[57:60], v54
	ds_load_b128 v[61:64], v54 offset:16
	ds_load_b128 v[65:68], v54 offset:32
	;; [unrolled: 1-line block ×3, first 2 shown]
	v_mul_f32_e32 v102, 0x3fb8aa3b, v52
	v_dual_mul_f32 v56, v33, v10 :: v_dual_mul_f32 v105, 0x3fb8aa3b, v69
	v_mul_f32_e32 v93, v33, v6
	ds_load_b128 v[76:79], v54 offset:64
	ds_load_b128 v[80:83], v54 offset:80
	;; [unrolled: 1-line block ×4, first 2 shown]
	v_dual_mul_f32 v104, 0x3fb8aa3b, v56 :: v_dual_mul_f32 v97, v33, v2
	v_mul_f32_e32 v108, 0x3fb8aa3b, v93
	v_fma_f32 v54, 0x3fb8aa3b, v34, -v71
	v_rndne_f32_e32 v115, v71
	v_fma_f32 v116, 0x3fb8aa3b, v40, -v100
	v_rndne_f32_e32 v117, v100
	v_mul_f32_e32 v112, 0x3fb8aa3b, v97
	v_rndne_f32_e32 v119, v101
	v_sub_f32_e32 v71, v71, v115
	v_rndne_f32_e32 v123, v103
	v_rndne_f32_e32 v127, v105
	v_fmac_f32_e32 v54, 0x32a5705f, v34
	v_fmac_f32_e32 v116, 0x32a5705f, v40
	v_sub_f32_e32 v100, v100, v117
	v_fma_f32 v118, 0x3fb8aa3b, v51, -v101
	v_fma_f32 v122, 0x3fb8aa3b, v53, -v103
	;; [unrolled: 1-line block ×3, first 2 shown]
	v_sub_f32_e32 v105, v105, v127
	v_sub_f32_e32 v101, v101, v119
	;; [unrolled: 1-line block ×3, first 2 shown]
	v_mul_f32_e32 v98, v33, v3
	v_dual_add_f32 v54, v71, v54 :: v_dual_add_f32 v71, v100, v116
	v_mul_f32_e32 v96, v33, v1
	v_fma_f32 v124, 0x3fb8aa3b, v56, -v104
	s_delay_alu instid0(VALU_DEP_4) | instskip(SKIP_1) | instid1(VALU_DEP_4)
	v_dual_mul_f32 v113, 0x3fb8aa3b, v98 :: v_dual_mul_f32 v92, v33, v5
	v_rndne_f32_e32 v125, v104
	v_dual_mul_f32 v111, 0x3fb8aa3b, v96 :: v_dual_mul_f32 v94, v33, v7
	v_fma_f32 v140, 0x3fb8aa3b, v97, -v112
	s_delay_alu instid0(VALU_DEP_4)
	v_mul_f32_e32 v107, 0x3fb8aa3b, v92
	v_mul_f32_e32 v70, v33, v12
	v_rndne_f32_e32 v141, v112
	v_mul_f32_e32 v109, 0x3fb8aa3b, v94
	v_mul_f32_e32 v95, v33, v8
	v_fma_f32 v130, 0x3fb8aa3b, v92, -v107
	v_dual_mul_f32 v106, 0x3fb8aa3b, v70 :: v_dual_mul_f32 v99, v33, v4
	s_delay_alu instid0(VALU_DEP_4) | instskip(NEXT) | instid1(VALU_DEP_4)
	v_fma_f32 v134, 0x3fb8aa3b, v94, -v109
	v_mul_f32_e32 v110, 0x3fb8aa3b, v95
	v_rndne_f32_e32 v143, v113
	s_delay_alu instid0(VALU_DEP_4)
	v_fma_f32 v128, 0x3fb8aa3b, v70, -v106
	v_rndne_f32_e32 v129, v106
	v_fmac_f32_e32 v130, 0x32a5705f, v92
	v_fma_f32 v136, 0x3fb8aa3b, v95, -v110
	v_rndne_f32_e32 v137, v110
	v_fma_f32 v120, 0x3fb8aa3b, v52, -v102
	v_rndne_f32_e32 v121, v102
	v_fma_f32 v142, 0x3fb8aa3b, v98, -v113
	v_dual_fmac_f32 v124, 0x32a5705f, v56 :: v_dual_sub_f32 v113, v113, v143
	v_fmac_f32_e32 v140, 0x32a5705f, v97
	v_sub_f32_e32 v112, v112, v141
	v_sub_f32_e32 v106, v106, v129
	v_exp_f32_e32 v54, v54
	v_rndne_f32_e32 v131, v107
	v_rndne_f32_e32 v135, v109
	v_fmac_f32_e32 v120, 0x32a5705f, v52
	v_sub_f32_e32 v102, v102, v121
	v_cvt_i32_f32_e32 v115, v115
	v_exp_f32_e32 v71, v71
	v_sub_f32_e32 v109, v109, v135
	v_rndne_f32_e32 v139, v111
	v_dual_fmac_f32 v122, 0x32a5705f, v53 :: v_dual_sub_f32 v107, v107, v131
	v_mul_f32_e32 v114, 0x3fb8aa3b, v99
	v_cvt_i32_f32_e32 v117, v117
	v_ldexp_f32 v54, v54, v115
	v_cmp_ngt_f32_e64 s0, 0xc2ce8ed0, v34
	v_fma_f32 v132, 0x3fb8aa3b, v93, -v108
	v_rndne_f32_e32 v133, v108
	v_fma_f32 v138, 0x3fb8aa3b, v96, -v111
	v_sub_f32_e32 v111, v111, v139
	v_cvt_i32_f32_e32 v119, v119
	v_ldexp_f32 v71, v71, v117
	v_cndmask_b32_e64 v54, 0, v54, s0
	v_cmp_ngt_f32_e64 s0, 0xc2ce8ed0, v40
	v_cvt_i32_f32_e32 v121, v121
	v_cvt_i32_f32_e32 v123, v123
	;; [unrolled: 1-line block ×4, first 2 shown]
	v_cndmask_b32_e64 v71, 0, v71, s0
	v_cmp_ngt_f32_e64 s0, 0xc2ce8ed0, v51
	v_cvt_i32_f32_e32 v131, v131
	v_fmac_f32_e32 v138, 0x32a5705f, v96
	v_cvt_i32_f32_e32 v135, v135
	v_fmac_f32_e32 v142, 0x32a5705f, v98
	v_cvt_i32_f32_e32 v139, v139
	v_cvt_i32_f32_e32 v141, v141
	;; [unrolled: 1-line block ×3, first 2 shown]
	s_bfe_i64 s[12:13], s[22:23], 0x200000
	s_mov_b32 s18, 0
	s_waitcnt vmcnt(0)
	v_dual_mul_f32 v33, v33, v39 :: v_dual_fmac_f32 v134, 0x32a5705f, v94
	v_sub_f32_e32 v110, v110, v137
	v_sub_f32_e32 v108, v108, v133
	v_cvt_i32_f32_e32 v133, v133
	s_waitcnt lgkmcnt(7)
	v_dual_mul_f32 v57, v33, v57 :: v_dual_fmac_f32 v136, 0x32a5705f, v95
	v_fmac_f32_e32 v128, 0x32a5705f, v70
	v_sub_f32_e32 v104, v104, v125
	v_fmac_f32_e32 v118, 0x32a5705f, v51
	v_cvt_i32_f32_e32 v125, v125
	v_cvt_i32_f32_e32 v137, v137
	s_delay_alu instid0(VALU_DEP_3) | instskip(SKIP_3) | instid1(VALU_DEP_4)
	v_dual_add_f32 v100, v101, v118 :: v_dual_add_f32 v101, v102, v120
	v_fma_f32 v144, 0x3fb8aa3b, v99, -v114
	v_rndne_f32_e32 v145, v114
	v_add_f32_e32 v102, v103, v122
	v_exp_f32_e32 v100, v100
	v_exp_f32_e32 v101, v101
	v_fmac_f32_e32 v144, 0x32a5705f, v99
	v_sub_f32_e32 v114, v114, v145
	v_fmac_f32_e32 v132, 0x32a5705f, v93
	v_dual_fmac_f32 v126, 0x32a5705f, v69 :: v_dual_add_f32 v103, v104, v124
	v_exp_f32_e32 v102, v102
	v_cvt_i32_f32_e32 v145, v145
	s_delay_alu instid0(TRANS32_DEP_3) | instskip(NEXT) | instid1(VALU_DEP_3)
	v_ldexp_f32 v100, v100, v119
	v_add_f32_e32 v104, v105, v126
	v_exp_f32_e32 v103, v103
	v_ldexp_f32 v101, v101, v121
	v_add_f32_e32 v105, v106, v128
	v_cndmask_b32_e64 v100, 0, v100, s0
	v_cmp_ngt_f32_e64 s0, 0xc2ce8ed0, v52
	v_exp_f32_e32 v104, v104
	v_ldexp_f32 v102, v102, v123
	v_add_f32_e32 v106, v107, v130
	v_exp_f32_e32 v105, v105
	v_cndmask_b32_e64 v101, 0, v101, s0
	v_cmp_ngt_f32_e64 s0, 0xc2ce8ed0, v53
	v_ldexp_f32 v103, v103, v125
	v_add_f32_e32 v107, v108, v132
	v_exp_f32_e32 v106, v106
	v_add_f32_e32 v108, v109, v134
	v_cndmask_b32_e64 v102, 0, v102, s0
	v_cmp_ngt_f32_e64 s0, 0xc2ce8ed0, v56
	v_ldexp_f32 v104, v104, v127
	v_exp_f32_e32 v107, v107
	v_ldexp_f32 v105, v105, v129
	v_add_f32_e32 v109, v110, v136
	v_cndmask_b32_e64 v103, 0, v103, s0
	v_cmp_ngt_f32_e64 s0, 0xc2ce8ed0, v69
	v_exp_f32_e32 v108, v108
	v_ldexp_f32 v106, v106, v131
	v_add_f32_e32 v110, v111, v138
	v_exp_f32_e32 v109, v109
	v_cndmask_b32_e64 v104, 0, v104, s0
	v_cmp_ngt_f32_e64 s0, 0xc2ce8ed0, v70
	v_ldexp_f32 v107, v107, v133
	v_add_f32_e32 v111, v112, v140
	v_exp_f32_e32 v110, v110
	v_add_f32_e32 v112, v113, v142
	v_cndmask_b32_e64 v105, 0, v105, s0
	v_cmp_ngt_f32_e64 s0, 0xc2ce8ed0, v92
	v_ldexp_f32 v108, v108, v135
	v_exp_f32_e32 v111, v111
	v_ldexp_f32 v109, v109, v137
	v_exp_f32_e32 v112, v112
	v_cndmask_b32_e64 v106, 0, v106, s0
	v_cmp_ngt_f32_e64 s0, 0xc2ce8ed0, v93
	v_ldexp_f32 v110, v110, v139
	v_add_f32_e32 v113, v114, v144
	s_delay_alu instid0(VALU_DEP_3) | instskip(SKIP_1) | instid1(TRANS32_DEP_2)
	v_cndmask_b32_e64 v107, 0, v107, s0
	v_cmp_ngt_f32_e64 s0, 0xc2ce8ed0, v94
	v_ldexp_f32 v111, v111, v141
	s_delay_alu instid0(VALU_DEP_4) | instskip(NEXT) | instid1(TRANS32_DEP_2)
	v_exp_f32_e32 v113, v113
	v_ldexp_f32 v112, v112, v143
	s_delay_alu instid0(VALU_DEP_3) | instskip(SKIP_1) | instid1(VALU_DEP_1)
	v_cndmask_b32_e64 v108, 0, v108, s0
	v_cmp_ngt_f32_e64 s0, 0xc2ce8ed0, v95
	v_cndmask_b32_e64 v109, 0, v109, s0
	v_cmp_ngt_f32_e64 s0, 0xc2ce8ed0, v96
	s_waitcnt_depctr 0xfff
	v_ldexp_f32 v113, v113, v145
	v_cndmask_b32_e64 v110, 0, v110, s0
	v_cmp_ngt_f32_e64 s0, 0xc2ce8ed0, v97
	s_delay_alu instid0(VALU_DEP_1) | instskip(SKIP_1) | instid1(VALU_DEP_1)
	v_cndmask_b32_e64 v111, 0, v111, s0
	v_cmp_ngt_f32_e64 s0, 0xc2ce8ed0, v98
	v_cndmask_b32_e64 v39, 0, v112, s0
	v_cmp_nlt_f32_e64 s0, 0x42b17218, v34
	s_delay_alu instid0(VALU_DEP_1) | instskip(SKIP_1) | instid1(VALU_DEP_2)
	v_cndmask_b32_e64 v34, 0x7f800000, v54, s0
	v_cmp_ngt_f32_e64 s0, 0xc2ce8ed0, v99
	v_fmac_f32_e32 v57, v35, v34
	s_delay_alu instid0(VALU_DEP_2) | instskip(SKIP_2) | instid1(VALU_DEP_3)
	v_cndmask_b32_e64 v54, 0, v113, s0
	v_cmp_nlt_f32_e64 s0, 0x42b17218, v40
	s_waitcnt lgkmcnt(3)
	v_fma_f32 v35, v76, v57, 0
	s_delay_alu instid0(VALU_DEP_2)
	v_cndmask_b32_e64 v40, 0x7f800000, v71, s0
	v_cmp_nlt_f32_e64 s0, 0x42b17218, v51
	v_mul_f32_e32 v71, v33, v58
	v_mul_f32_e32 v58, v33, v59
	;; [unrolled: 1-line block ×4, first 2 shown]
	v_cndmask_b32_e64 v34, 0x7f800000, v100, s0
	v_cmp_nlt_f32_e64 s0, 0x42b17218, v52
	v_fmac_f32_e32 v71, v38, v40
	v_mul_f32_e32 v61, v33, v62
	v_mul_f32_e32 v62, v33, v63
	v_fmac_f32_e32 v58, v29, v34
	v_cndmask_b32_e64 v38, 0x7f800000, v101, s0
	v_cmp_nlt_f32_e64 s0, 0x42b17218, v53
	v_fmac_f32_e32 v35, v77, v71
	v_mul_f32_e32 v63, v33, v64
	s_delay_alu instid0(VALU_DEP_4) | instskip(NEXT) | instid1(VALU_DEP_4)
	v_dual_mul_f32 v64, v33, v65 :: v_dual_fmac_f32 v59, v30, v38
	v_cndmask_b32_e64 v29, 0x7f800000, v102, s0
	v_cmp_nlt_f32_e64 s0, 0x42b17218, v56
	v_fmac_f32_e32 v35, v78, v58
	v_mul_f32_e32 v65, v33, v66
	v_mul_f32_e32 v56, v33, v75
	v_fmac_f32_e32 v60, v31, v29
	v_cndmask_b32_e64 v30, 0x7f800000, v103, s0
	v_cmp_nlt_f32_e64 s0, 0x42b17218, v69
	v_mul_f32_e32 v69, v33, v73
	v_mul_f32_e32 v66, v33, v67
	;; [unrolled: 1-line block ×3, first 2 shown]
	v_fmac_f32_e32 v61, v32, v30
	v_cndmask_b32_e64 v29, 0x7f800000, v104, s0
	v_cmp_nlt_f32_e64 s0, 0x42b17218, v70
	v_dual_fmac_f32 v35, v79, v59 :: v_dual_mul_f32 v68, v33, v72
	v_mul_f32_e32 v70, v33, v74
	s_delay_alu instid0(VALU_DEP_4) | instskip(NEXT) | instid1(VALU_DEP_4)
	v_fmac_f32_e32 v62, v25, v29
	v_cndmask_b32_e64 v30, 0x7f800000, v105, s0
	v_cmp_nlt_f32_e64 s0, 0x42b17218, v92
	s_waitcnt lgkmcnt(2)
	v_fmac_f32_e32 v35, v80, v60
	s_delay_alu instid0(VALU_DEP_3) | instskip(NEXT) | instid1(VALU_DEP_3)
	v_fmac_f32_e32 v63, v26, v30
	v_cndmask_b32_e64 v25, 0x7f800000, v106, s0
	v_cmp_nlt_f32_e64 s0, 0x42b17218, v93
	s_delay_alu instid0(VALU_DEP_4) | instskip(NEXT) | instid1(VALU_DEP_3)
	v_fmac_f32_e32 v35, v81, v61
	v_fmac_f32_e32 v64, v27, v25
	s_delay_alu instid0(VALU_DEP_3) | instskip(SKIP_1) | instid1(VALU_DEP_2)
	v_cndmask_b32_e64 v26, 0x7f800000, v107, s0
	v_cmp_nlt_f32_e64 s0, 0x42b17218, v94
	v_fmac_f32_e32 v65, v28, v26
	s_delay_alu instid0(VALU_DEP_2) | instskip(SKIP_1) | instid1(VALU_DEP_2)
	v_cndmask_b32_e64 v25, 0x7f800000, v108, s0
	v_cmp_nlt_f32_e64 s0, 0x42b17218, v95
	v_fmac_f32_e32 v66, v36, v25
	s_delay_alu instid0(VALU_DEP_2) | instskip(SKIP_1) | instid1(VALU_DEP_2)
	v_cndmask_b32_e64 v26, 0x7f800000, v109, s0
	v_cmp_nlt_f32_e64 s0, 0x42b17218, v96
	v_fmac_f32_e32 v67, v22, v26
	v_fmac_f32_e32 v35, v82, v62
	s_delay_alu instid0(VALU_DEP_3) | instskip(SKIP_1) | instid1(VALU_DEP_3)
	v_cndmask_b32_e64 v25, 0x7f800000, v110, s0
	v_cmp_nlt_f32_e64 s0, 0x42b17218, v97
	v_fmac_f32_e32 v35, v83, v63
	s_delay_alu instid0(VALU_DEP_3) | instskip(NEXT) | instid1(VALU_DEP_3)
	v_fmac_f32_e32 v68, v23, v25
	v_cndmask_b32_e64 v22, 0x7f800000, v111, s0
	v_cmp_nlt_f32_e64 s0, 0x42b17218, v98
	s_waitcnt lgkmcnt(1)
	v_fmac_f32_e32 v35, v84, v64
	s_delay_alu instid0(VALU_DEP_3) | instskip(NEXT) | instid1(VALU_DEP_3)
	v_fmac_f32_e32 v69, v24, v22
	v_cndmask_b32_e64 v23, 0x7f800000, v39, s0
	v_cmp_nlt_f32_e64 s0, 0x42b17218, v99
	s_delay_alu instid0(VALU_DEP_4) | instskip(NEXT) | instid1(VALU_DEP_3)
	v_fmac_f32_e32 v35, v85, v65
	v_fmac_f32_e32 v70, v37, v23
	s_delay_alu instid0(VALU_DEP_3) | instskip(NEXT) | instid1(VALU_DEP_3)
	v_cndmask_b32_e64 v22, 0x7f800000, v54, s0
	v_fmac_f32_e32 v35, v86, v66
	s_lshl_b64 s[0:1], s[12:13], 2
	s_delay_alu instid0(VALU_DEP_1) | instskip(SKIP_1) | instid1(VALU_DEP_1)
	v_dual_fmac_f32 v56, v21, v22 :: v_dual_fmac_f32 v35, v87, v67
	v_add_co_u32 v21, s0, v47, s0
	v_add_co_ci_u32_e64 v22, s0, s1, v48, s0
	s_waitcnt lgkmcnt(0)
	s_delay_alu instid0(VALU_DEP_3) | instskip(NEXT) | instid1(VALU_DEP_1)
	v_fmac_f32_e32 v35, v88, v68
	v_fmac_f32_e32 v35, v89, v69
	s_delay_alu instid0(VALU_DEP_1) | instskip(NEXT) | instid1(VALU_DEP_1)
	v_fmac_f32_e32 v35, v90, v70
	v_fmac_f32_e32 v35, v91, v56
	global_store_b32 v[21:22], v35, off
	s_waitcnt_vscnt null, 0x0
	s_barrier
	buffer_gl0_inv
	s_and_saveexec_b32 s1, vcc_lo
	s_cbranch_execz .LBB8_10
; %bb.9:
	s_lshl_b64 s[24:25], s[2:3], 3
	s_delay_alu instid0(SALU_CYCLE_1) | instskip(NEXT) | instid1(VALU_DEP_1)
	v_add_co_u32 v21, s0, v43, s24
	v_add_co_ci_u32_e64 v22, s0, s25, v44, s0
	s_lshl_b64 s[24:25], s[10:11], 3
	s_delay_alu instid0(SALU_CYCLE_1) | instskip(NEXT) | instid1(VALU_DEP_1)
	v_add_co_u32 v23, s0, v45, s24
	v_add_co_ci_u32_e64 v24, s0, s25, v46, s0
	global_load_b32 v21, v[21:22], off
	global_load_b32 v22, v[23:24], off
	s_waitcnt vmcnt(1)
	ds_store_b32 v55, v21
	s_waitcnt vmcnt(0)
	ds_store_b32 v0, v22
.LBB8_10:
	s_or_b32 exec_lo, exec_lo, s1
	v_add_co_u32 v51, s0, v17, s8
	s_delay_alu instid0(VALU_DEP_1)
	v_add_co_ci_u32_e64 v52, s0, s9, v18, s0
	s_waitcnt lgkmcnt(0)
	s_barrier
	buffer_gl0_inv
	global_load_b32 v72, v[51:52], off
	s_mov_b32 s19, s22
	s_mov_b32 s4, exec_lo
	s_waitcnt vmcnt(0)
	v_cmpx_ge_f32_e32 0x41a00000, v72
	s_cbranch_execz .LBB8_12
; %bb.11:
	v_mul_f32_e32 v17, 0x3fb8aa3b, v72
	v_cmp_ngt_f32_e64 s0, 0xc2ce8ed0, v72
	s_delay_alu instid0(VALU_DEP_2) | instskip(SKIP_1) | instid1(VALU_DEP_2)
	v_rndne_f32_e32 v18, v17
	v_fma_f32 v21, 0x3fb8aa3b, v72, -v17
	v_sub_f32_e32 v17, v17, v18
	s_delay_alu instid0(VALU_DEP_2) | instskip(SKIP_1) | instid1(VALU_DEP_2)
	v_fmamk_f32 v21, v72, 0x32a5705f, v21
	v_cvt_i32_f32_e32 v18, v18
	v_add_f32_e32 v17, v17, v21
	s_delay_alu instid0(VALU_DEP_1) | instskip(SKIP_2) | instid1(VALU_DEP_1)
	v_exp_f32_e32 v17, v17
	s_waitcnt_depctr 0xfff
	v_ldexp_f32 v17, v17, v18
	v_cndmask_b32_e64 v17, 0, v17, s0
	v_cmp_nlt_f32_e64 s0, 0x42b17218, v72
	s_delay_alu instid0(VALU_DEP_1) | instskip(NEXT) | instid1(VALU_DEP_1)
	v_cndmask_b32_e64 v21, 0x7f800000, v17, s0
	v_add_f32_e32 v22, 1.0, v21
	v_cmp_gt_f32_e64 s1, 0x33800000, v21
	s_delay_alu instid0(VALU_DEP_2) | instskip(NEXT) | instid1(VALU_DEP_1)
	v_cvt_f64_f32_e32 v[17:18], v22
	v_frexp_exp_i32_f64_e32 v17, v[17:18]
	v_frexp_mant_f32_e32 v18, v22
	s_delay_alu instid0(VALU_DEP_1) | instskip(SKIP_1) | instid1(VALU_DEP_1)
	v_cmp_gt_f32_e64 s0, 0x3f2aaaab, v18
	v_add_f32_e32 v18, -1.0, v22
	v_sub_f32_e32 v24, v18, v22
	v_sub_f32_e32 v18, v21, v18
	s_delay_alu instid0(VALU_DEP_2) | instskip(NEXT) | instid1(VALU_DEP_1)
	v_add_f32_e32 v24, 1.0, v24
	v_add_f32_e32 v18, v18, v24
	v_subrev_co_ci_u32_e64 v17, s0, 0, v17, s0
	s_mov_b32 s0, 0x3e9b6dac
	s_delay_alu instid0(VALU_DEP_1) | instskip(SKIP_1) | instid1(VALU_DEP_2)
	v_sub_nc_u32_e32 v23, 0, v17
	v_cvt_f32_i32_e32 v17, v17
	v_ldexp_f32 v22, v22, v23
	v_ldexp_f32 v18, v18, v23
	s_delay_alu instid0(VALU_DEP_2) | instskip(NEXT) | instid1(VALU_DEP_1)
	v_add_f32_e32 v25, 1.0, v22
	v_dual_add_f32 v23, -1.0, v22 :: v_dual_add_f32 v24, -1.0, v25
	s_delay_alu instid0(VALU_DEP_1) | instskip(NEXT) | instid1(VALU_DEP_2)
	v_add_f32_e32 v26, 1.0, v23
	v_sub_f32_e32 v24, v22, v24
	s_delay_alu instid0(VALU_DEP_2) | instskip(NEXT) | instid1(VALU_DEP_2)
	v_sub_f32_e32 v22, v22, v26
	v_add_f32_e32 v24, v18, v24
	s_delay_alu instid0(VALU_DEP_2) | instskip(NEXT) | instid1(VALU_DEP_1)
	v_add_f32_e32 v18, v18, v22
	v_dual_add_f32 v27, v23, v18 :: v_dual_add_f32 v26, v25, v24
	s_delay_alu instid0(VALU_DEP_1) | instskip(NEXT) | instid1(VALU_DEP_2)
	v_sub_f32_e32 v23, v23, v27
	v_rcp_f32_e32 v22, v26
	v_sub_f32_e32 v25, v25, v26
	s_delay_alu instid0(VALU_DEP_1) | instskip(SKIP_2) | instid1(VALU_DEP_1)
	v_add_f32_e32 v24, v24, v25
	s_waitcnt_depctr 0xfff
	v_mul_f32_e32 v28, v27, v22
	v_mul_f32_e32 v29, v26, v28
	s_delay_alu instid0(VALU_DEP_1) | instskip(NEXT) | instid1(VALU_DEP_1)
	v_fma_f32 v25, v28, v26, -v29
	v_fmac_f32_e32 v25, v28, v24
	s_delay_alu instid0(VALU_DEP_1) | instskip(NEXT) | instid1(VALU_DEP_1)
	v_add_f32_e32 v30, v29, v25
	v_sub_f32_e32 v31, v27, v30
	s_delay_alu instid0(VALU_DEP_1) | instskip(SKIP_2) | instid1(VALU_DEP_3)
	v_sub_f32_e32 v27, v27, v31
	v_add_f32_e32 v18, v18, v23
	v_sub_f32_e32 v23, v30, v29
	v_sub_f32_e32 v27, v27, v30
	s_delay_alu instid0(VALU_DEP_1) | instskip(NEXT) | instid1(VALU_DEP_1)
	v_dual_sub_f32 v23, v23, v25 :: v_dual_add_f32 v18, v18, v27
	v_add_f32_e32 v18, v23, v18
	s_delay_alu instid0(VALU_DEP_1) | instskip(NEXT) | instid1(VALU_DEP_1)
	v_add_f32_e32 v23, v31, v18
	v_mul_f32_e32 v25, v22, v23
	s_delay_alu instid0(VALU_DEP_1) | instskip(NEXT) | instid1(VALU_DEP_1)
	v_dual_sub_f32 v30, v31, v23 :: v_dual_mul_f32 v27, v26, v25
	v_add_f32_e32 v18, v18, v30
	s_delay_alu instid0(VALU_DEP_2) | instskip(NEXT) | instid1(VALU_DEP_1)
	v_fma_f32 v26, v25, v26, -v27
	v_fmac_f32_e32 v26, v25, v24
	s_delay_alu instid0(VALU_DEP_1) | instskip(NEXT) | instid1(VALU_DEP_1)
	v_add_f32_e32 v24, v27, v26
	v_sub_f32_e32 v29, v23, v24
	s_delay_alu instid0(VALU_DEP_1) | instskip(NEXT) | instid1(VALU_DEP_1)
	v_sub_f32_e32 v23, v23, v29
	v_sub_f32_e32 v23, v23, v24
	s_delay_alu instid0(VALU_DEP_1) | instskip(SKIP_1) | instid1(VALU_DEP_1)
	v_dual_add_f32 v18, v18, v23 :: v_dual_add_f32 v23, v28, v25
	v_sub_f32_e32 v27, v24, v27
	v_sub_f32_e32 v24, v27, v26
	s_delay_alu instid0(VALU_DEP_1) | instskip(NEXT) | instid1(VALU_DEP_4)
	v_add_f32_e32 v18, v24, v18
	v_sub_f32_e32 v24, v23, v28
	s_delay_alu instid0(VALU_DEP_2) | instskip(NEXT) | instid1(VALU_DEP_2)
	v_add_f32_e32 v18, v29, v18
	v_sub_f32_e32 v24, v25, v24
	s_delay_alu instid0(VALU_DEP_2) | instskip(NEXT) | instid1(VALU_DEP_1)
	v_mul_f32_e32 v18, v22, v18
	v_add_f32_e32 v18, v24, v18
	s_delay_alu instid0(VALU_DEP_1) | instskip(NEXT) | instid1(VALU_DEP_1)
	v_add_f32_e32 v22, v23, v18
	v_mul_f32_e32 v24, v22, v22
	s_delay_alu instid0(VALU_DEP_1) | instskip(SKIP_2) | instid1(VALU_DEP_3)
	v_fmaak_f32 v25, s0, v24, 0x3ecc95a3
	v_mul_f32_e32 v26, v22, v24
	v_cmp_eq_f32_e64 s0, 0x7f800000, v21
	v_fmaak_f32 v24, v24, v25, 0x3f2aaada
	v_ldexp_f32 v25, v22, 1
	v_sub_f32_e32 v22, v22, v23
	s_delay_alu instid0(VALU_DEP_4) | instskip(NEXT) | instid1(VALU_DEP_3)
	s_or_b32 s0, s1, s0
	v_mul_f32_e32 v24, v26, v24
	v_mul_f32_e32 v26, 0x3f317218, v17
	s_delay_alu instid0(VALU_DEP_2) | instskip(NEXT) | instid1(VALU_DEP_1)
	v_dual_sub_f32 v18, v18, v22 :: v_dual_add_f32 v23, v25, v24
	v_ldexp_f32 v18, v18, 1
	s_delay_alu instid0(VALU_DEP_2) | instskip(NEXT) | instid1(VALU_DEP_4)
	v_sub_f32_e32 v22, v23, v25
	v_fma_f32 v25, 0x3f317218, v17, -v26
	s_delay_alu instid0(VALU_DEP_1) | instskip(NEXT) | instid1(VALU_DEP_1)
	v_dual_sub_f32 v22, v24, v22 :: v_dual_fmamk_f32 v17, v17, 0xb102e308, v25
	v_add_f32_e32 v18, v18, v22
	s_delay_alu instid0(VALU_DEP_2) | instskip(NEXT) | instid1(VALU_DEP_2)
	v_add_f32_e32 v22, v26, v17
	v_add_f32_e32 v24, v23, v18
	s_delay_alu instid0(VALU_DEP_2) | instskip(NEXT) | instid1(VALU_DEP_2)
	v_sub_f32_e32 v26, v22, v26
	v_add_f32_e32 v25, v22, v24
	v_sub_f32_e32 v23, v24, v23
	s_delay_alu instid0(VALU_DEP_3) | instskip(NEXT) | instid1(VALU_DEP_2)
	v_sub_f32_e32 v17, v17, v26
	v_dual_sub_f32 v27, v25, v22 :: v_dual_sub_f32 v18, v18, v23
	s_delay_alu instid0(VALU_DEP_1) | instskip(NEXT) | instid1(VALU_DEP_2)
	v_sub_f32_e32 v28, v25, v27
	v_dual_sub_f32 v23, v24, v27 :: v_dual_add_f32 v24, v17, v18
	s_delay_alu instid0(VALU_DEP_2) | instskip(NEXT) | instid1(VALU_DEP_1)
	v_sub_f32_e32 v22, v22, v28
	v_dual_add_f32 v22, v23, v22 :: v_dual_sub_f32 v23, v24, v17
	s_delay_alu instid0(VALU_DEP_1) | instskip(NEXT) | instid1(VALU_DEP_2)
	v_add_f32_e32 v22, v24, v22
	v_sub_f32_e32 v24, v24, v23
	v_sub_f32_e32 v18, v18, v23
	s_delay_alu instid0(VALU_DEP_3) | instskip(NEXT) | instid1(VALU_DEP_3)
	v_add_f32_e32 v26, v25, v22
	v_sub_f32_e32 v17, v17, v24
	s_delay_alu instid0(VALU_DEP_2) | instskip(NEXT) | instid1(VALU_DEP_2)
	v_sub_f32_e32 v23, v26, v25
	v_add_f32_e32 v17, v18, v17
	s_delay_alu instid0(VALU_DEP_2) | instskip(NEXT) | instid1(VALU_DEP_1)
	v_sub_f32_e32 v18, v22, v23
	v_add_f32_e32 v17, v17, v18
	s_delay_alu instid0(VALU_DEP_1) | instskip(NEXT) | instid1(VALU_DEP_1)
	v_add_f32_e32 v17, v26, v17
	v_cndmask_b32_e64 v72, v17, v21, s0
.LBB8_12:
	s_or_b32 exec_lo, exec_lo, s4
	v_add_co_u32 v53, s0, v19, s16
	s_delay_alu instid0(VALU_DEP_1) | instskip(NEXT) | instid1(VALU_DEP_3)
	v_add_co_ci_u32_e64 v54, s0, s17, v20, s0
	v_dual_mov_b32 v21, 0 :: v_dual_mul_f32 v76, v72, v15
	v_mul_f32_e32 v73, v72, v13
	global_load_b32 v74, v[53:54], off
	ds_load_b128 v[90:93], v21
	ds_load_b128 v[37:40], v21 offset:16
	ds_load_b128 v[25:28], v21 offset:32
	;; [unrolled: 1-line block ×3, first 2 shown]
	v_dual_mul_f32 v100, 0x3fb8aa3b, v76 :: v_dual_mul_f32 v75, v72, v14
	v_mul_f32_e32 v98, 0x3fb8aa3b, v73
	v_mul_f32_e32 v78, v72, v9
	v_cmp_ngt_f32_e64 s0, 0xc2ce8ed0, v73
	s_delay_alu instid0(VALU_DEP_4) | instskip(SKIP_1) | instid1(VALU_DEP_4)
	v_fma_f32 v118, 0x3fb8aa3b, v76, -v100
	v_mul_f32_e32 v99, 0x3fb8aa3b, v75
	v_dual_mul_f32 v77, v72, v16 :: v_dual_mul_f32 v102, 0x3fb8aa3b, v78
	v_mul_f32_e32 v80, v72, v11
	v_fma_f32 v114, 0x3fb8aa3b, v73, -v98
	v_mul_f32_e32 v89, v72, v4
	s_delay_alu instid0(VALU_DEP_4) | instskip(NEXT) | instid1(VALU_DEP_4)
	v_mul_f32_e32 v101, 0x3fb8aa3b, v77
	v_dual_mul_f32 v79, v72, v10 :: v_dual_mul_f32 v104, 0x3fb8aa3b, v80
	v_mul_f32_e32 v82, v72, v5
	v_rndne_f32_e32 v115, v98
	v_fma_f32 v116, 0x3fb8aa3b, v75, -v99
	s_delay_alu instid0(VALU_DEP_4) | instskip(NEXT) | instid1(VALU_DEP_4)
	v_mul_f32_e32 v103, 0x3fb8aa3b, v79
	v_dual_mul_f32 v81, v72, v12 :: v_dual_mul_f32 v106, 0x3fb8aa3b, v82
	v_mul_f32_e32 v84, v72, v7
	v_rndne_f32_e32 v117, v99
	v_fmac_f32_e32 v114, 0x32a5705f, v73
	s_delay_alu instid0(VALU_DEP_4) | instskip(NEXT) | instid1(VALU_DEP_4)
	v_mul_f32_e32 v105, 0x3fb8aa3b, v81
	v_dual_mul_f32 v83, v72, v6 :: v_dual_mul_f32 v108, 0x3fb8aa3b, v84
	v_mul_f32_e32 v86, v72, v1
	v_dual_mul_f32 v113, 0x3fb8aa3b, v89 :: v_dual_sub_f32 v98, v98, v115
	s_delay_alu instid0(VALU_DEP_3) | instskip(NEXT) | instid1(VALU_DEP_3)
	v_mul_f32_e32 v107, 0x3fb8aa3b, v83
	v_dual_mul_f32 v85, v72, v8 :: v_dual_mul_f32 v110, 0x3fb8aa3b, v86
	v_mul_f32_e32 v88, v72, v3
	v_rndne_f32_e32 v119, v100
	v_fma_f32 v120, 0x3fb8aa3b, v77, -v101
	s_delay_alu instid0(VALU_DEP_4) | instskip(NEXT) | instid1(VALU_DEP_4)
	v_mul_f32_e32 v109, 0x3fb8aa3b, v85
	v_dual_mul_f32 v87, v72, v2 :: v_dual_mul_f32 v112, 0x3fb8aa3b, v88
	v_dual_fmac_f32 v116, 0x32a5705f, v75 :: v_dual_sub_f32 v99, v99, v117
	s_delay_alu instid0(VALU_DEP_2)
	v_dual_add_f32 v98, v98, v114 :: v_dual_mul_f32 v111, 0x3fb8aa3b, v87
	v_rndne_f32_e32 v121, v101
	v_rndne_f32_e32 v125, v103
	v_fmac_f32_e32 v118, 0x32a5705f, v76
	v_sub_f32_e32 v100, v100, v119
	v_dual_fmac_f32 v120, 0x32a5705f, v77 :: v_dual_add_f32 v99, v99, v116
	v_exp_f32_e32 v98, v98
	v_fma_f32 v122, 0x3fb8aa3b, v78, -v102
	v_rndne_f32_e32 v123, v102
	v_fma_f32 v124, 0x3fb8aa3b, v79, -v103
	v_fma_f32 v128, 0x3fb8aa3b, v81, -v105
	v_cvt_i32_f32_e32 v115, v115
	v_sub_f32_e32 v101, v101, v121
	v_sub_f32_e32 v103, v103, v125
	v_exp_f32_e32 v99, v99
	v_rndne_f32_e32 v129, v105
	v_rndne_f32_e32 v133, v107
	v_cvt_i32_f32_e32 v117, v117
	v_fmac_f32_e32 v122, 0x32a5705f, v78
	v_sub_f32_e32 v102, v102, v123
	v_dual_fmac_f32 v128, 0x32a5705f, v81 :: v_dual_add_f32 v101, v101, v120
	v_ldexp_f32 v98, v98, v115
	v_fma_f32 v126, 0x3fb8aa3b, v80, -v104
	v_rndne_f32_e32 v127, v104
	v_fma_f32 v130, 0x3fb8aa3b, v82, -v106
	v_fma_f32 v132, 0x3fb8aa3b, v83, -v107
	v_rndne_f32_e32 v137, v109
	v_cvt_i32_f32_e32 v119, v119
	v_dual_fmac_f32 v124, 0x32a5705f, v79 :: v_dual_sub_f32 v105, v105, v129
	v_dual_sub_f32 v107, v107, v133 :: v_dual_add_f32 v102, v102, v122
	v_exp_f32_e32 v101, v101
	v_ldexp_f32 v99, v99, v117
	v_cndmask_b32_e64 v98, 0, v98, s0
	v_cmp_ngt_f32_e64 s0, 0xc2ce8ed0, v75
	v_fma_f32 v136, 0x3fb8aa3b, v85, -v109
	v_rndne_f32_e32 v141, v111
	v_rndne_f32_e32 v145, v113
	v_cvt_i32_f32_e32 v121, v121
	v_fmac_f32_e32 v126, 0x32a5705f, v80
	v_dual_sub_f32 v104, v104, v127 :: v_dual_sub_f32 v109, v109, v137
	v_dual_fmac_f32 v130, 0x32a5705f, v82 :: v_dual_add_f32 v103, v103, v124
	v_exp_f32_e32 v102, v102
	v_cndmask_b32_e64 v99, 0, v99, s0
	v_cmp_ngt_f32_e64 s0, 0xc2ce8ed0, v76
	ds_load_b128 v[94:97], v21 offset:64
	ds_load_b128 v[33:36], v21 offset:80
	v_rndne_f32_e32 v131, v106
	v_fma_f32 v140, 0x3fb8aa3b, v87, -v111
	v_fma_f32 v144, 0x3fb8aa3b, v89, -v113
	v_cvt_i32_f32_e32 v123, v123
	v_sub_f32_e32 v111, v111, v141
	v_dual_sub_f32 v113, v113, v145 :: v_dual_add_f32 v104, v104, v126
	v_exp_f32_e32 v103, v103
	v_ldexp_f32 v101, v101, v121
	v_cvt_i32_f32_e32 v125, v125
	v_dual_sub_f32 v106, v106, v131 :: v_dual_add_f32 v105, v105, v128
	v_exp_f32_e32 v104, v104
	v_ldexp_f32 v102, v102, v123
	v_fma_f32 v134, 0x3fb8aa3b, v84, -v108
	v_rndne_f32_e32 v135, v108
	v_cvt_i32_f32_e32 v127, v127
	v_add_f32_e32 v106, v106, v130
	v_exp_f32_e32 v105, v105
	v_ldexp_f32 v103, v103, v125
	v_cvt_i32_f32_e32 v129, v129
	v_fma_f32 v138, 0x3fb8aa3b, v86, -v110
	v_exp_f32_e32 v106, v106
	v_ldexp_f32 v104, v104, v127
	v_rndne_f32_e32 v139, v110
	v_cvt_i32_f32_e32 v131, v131
	v_cvt_i32_f32_e32 v133, v133
	v_fmac_f32_e32 v144, 0x32a5705f, v89
	v_ldexp_f32 v105, v105, v129
	v_fmac_f32_e32 v138, 0x32a5705f, v86
	v_sub_f32_e32 v110, v110, v139
	v_fma_f32 v142, 0x3fb8aa3b, v88, -v112
	v_ldexp_f32 v106, v106, v131
	v_rndne_f32_e32 v143, v112
	s_delay_alu instid0(VALU_DEP_4)
	v_dual_add_f32 v113, v113, v144 :: v_dual_add_f32 v110, v110, v138
	v_cvt_i32_f32_e32 v137, v137
	v_fmac_f32_e32 v142, 0x32a5705f, v88
	v_cvt_i32_f32_e32 v139, v139
	v_cvt_i32_f32_e32 v141, v141
	v_exp_f32_e32 v110, v110
	v_exp_f32_e32 v113, v113
	v_cvt_i32_f32_e32 v145, v145
	ds_load_b128 v[29:32], v21 offset:96
	ds_load_b128 v[21:24], v21 offset:112
	v_ldexp_f32 v110, v110, v139
	v_ldexp_f32 v113, v113, v145
	s_waitcnt vmcnt(0)
	v_mul_f32_e32 v74, v72, v74
	v_add_f32_e32 v100, v100, v118
	v_fmac_f32_e32 v140, 0x32a5705f, v87
	v_fmac_f32_e32 v136, 0x32a5705f, v85
	s_waitcnt lgkmcnt(6)
	v_dual_fmac_f32 v134, 0x32a5705f, v84 :: v_dual_mul_f32 v37, v74, v37
	v_exp_f32_e32 v100, v100
	v_dual_add_f32 v111, v111, v140 :: v_dual_fmac_f32 v132, 0x32a5705f, v83
	v_dual_add_f32 v109, v109, v136 :: v_dual_sub_f32 v108, v108, v135
	v_mul_f32_e32 v39, v74, v39
	v_cvt_i32_f32_e32 v135, v135
	s_delay_alu instid0(VALU_DEP_4) | instskip(NEXT) | instid1(VALU_DEP_4)
	v_add_f32_e32 v107, v107, v132
	v_exp_f32_e32 v109, v109
	v_add_f32_e32 v108, v108, v134
	s_delay_alu instid0(TRANS32_DEP_2)
	v_ldexp_f32 v100, v100, v119
	v_sub_f32_e32 v112, v112, v143
	v_exp_f32_e32 v107, v107
	v_exp_f32_e32 v111, v111
	;; [unrolled: 1-line block ×3, first 2 shown]
	v_cndmask_b32_e64 v100, 0, v100, s0
	v_cmp_ngt_f32_e64 s0, 0xc2ce8ed0, v77
	v_add_f32_e32 v112, v112, v142
	v_ldexp_f32 v109, v109, v137
	v_cvt_i32_f32_e32 v143, v143
	v_mul_f32_e32 v72, v74, v90
	v_cndmask_b32_e64 v101, 0, v101, s0
	v_cmp_ngt_f32_e64 s0, 0xc2ce8ed0, v78
	v_ldexp_f32 v107, v107, v133
	v_ldexp_f32 v108, v108, v135
	v_exp_f32_e32 v112, v112
	v_ldexp_f32 v111, v111, v141
	v_cndmask_b32_e64 v102, 0, v102, s0
	v_cmp_ngt_f32_e64 s0, 0xc2ce8ed0, v79
	v_mul_f32_e32 v38, v74, v38
	s_delay_alu instid0(VALU_DEP_2) | instskip(SKIP_1) | instid1(TRANS32_DEP_1)
	v_cndmask_b32_e64 v103, 0, v103, s0
	v_cmp_ngt_f32_e64 s0, 0xc2ce8ed0, v80
	v_ldexp_f32 v112, v112, v143
	s_delay_alu instid0(VALU_DEP_2) | instskip(SKIP_1) | instid1(VALU_DEP_1)
	v_cndmask_b32_e64 v104, 0, v104, s0
	v_cmp_ngt_f32_e64 s0, 0xc2ce8ed0, v81
	v_cndmask_b32_e64 v105, 0, v105, s0
	v_cmp_ngt_f32_e64 s0, 0xc2ce8ed0, v82
	s_delay_alu instid0(VALU_DEP_1) | instskip(SKIP_1) | instid1(VALU_DEP_1)
	v_cndmask_b32_e64 v106, 0, v106, s0
	v_cmp_ngt_f32_e64 s0, 0xc2ce8ed0, v83
	v_cndmask_b32_e64 v107, 0, v107, s0
	v_cmp_ngt_f32_e64 s0, 0xc2ce8ed0, v84
	s_delay_alu instid0(VALU_DEP_1) | instskip(SKIP_1) | instid1(VALU_DEP_1)
	;; [unrolled: 5-line block ×3, first 2 shown]
	v_cndmask_b32_e64 v110, 0, v110, s0
	v_cmp_ngt_f32_e64 s0, 0xc2ce8ed0, v87
	v_cndmask_b32_e64 v111, 0, v111, s0
	v_cmp_ngt_f32_e64 s0, 0xc2ce8ed0, v88
	s_delay_alu instid0(VALU_DEP_1) | instskip(SKIP_2) | instid1(VALU_DEP_2)
	v_cndmask_b32_e64 v112, 0, v112, s0
	v_cmp_nlt_f32_e64 s0, 0x42b17218, v73
	v_mul_f32_e32 v73, v74, v91
	v_cndmask_b32_e64 v98, 0x7f800000, v98, s0
	v_cmp_ngt_f32_e64 s0, 0xc2ce8ed0, v89
	s_delay_alu instid0(VALU_DEP_2) | instskip(NEXT) | instid1(VALU_DEP_2)
	v_fmac_f32_e32 v72, v57, v98
	v_cndmask_b32_e64 v90, 0, v113, s0
	v_cmp_nlt_f32_e64 s0, 0x42b17218, v75
	v_mul_f32_e32 v57, v74, v92
	s_delay_alu instid0(VALU_DEP_2) | instskip(SKIP_1) | instid1(VALU_DEP_2)
	v_cndmask_b32_e64 v75, 0x7f800000, v99, s0
	v_cmp_nlt_f32_e64 s0, 0x42b17218, v76
	v_fmac_f32_e32 v73, v71, v75
	s_delay_alu instid0(VALU_DEP_2)
	v_cndmask_b32_e64 v76, 0x7f800000, v100, s0
	v_cmp_nlt_f32_e64 s0, 0x42b17218, v77
	s_waitcnt lgkmcnt(3)
	v_fma_f32 v75, v94, v72, 0
	v_mul_f32_e32 v71, v74, v93
	v_fmac_f32_e32 v57, v58, v76
	v_cndmask_b32_e64 v77, 0x7f800000, v101, s0
	v_cmp_nlt_f32_e64 s0, 0x42b17218, v78
	v_fmac_f32_e32 v75, v95, v73
	s_delay_alu instid0(VALU_DEP_3) | instskip(NEXT) | instid1(VALU_DEP_3)
	v_fmac_f32_e32 v71, v59, v77
	v_cndmask_b32_e64 v58, 0x7f800000, v102, s0
	v_cmp_nlt_f32_e64 s0, 0x42b17218, v79
	s_delay_alu instid0(VALU_DEP_4) | instskip(NEXT) | instid1(VALU_DEP_2)
	v_fmac_f32_e32 v75, v96, v57
	v_cndmask_b32_e64 v59, 0x7f800000, v103, s0
	v_cmp_nlt_f32_e64 s0, 0x42b17218, v80
	v_fmac_f32_e32 v37, v60, v58
	s_delay_alu instid0(VALU_DEP_4) | instskip(NEXT) | instid1(VALU_DEP_4)
	v_fmac_f32_e32 v75, v97, v71
	v_fmac_f32_e32 v38, v61, v59
	s_delay_alu instid0(VALU_DEP_4) | instskip(SKIP_4) | instid1(VALU_DEP_3)
	v_cndmask_b32_e64 v58, 0x7f800000, v104, s0
	v_cmp_nlt_f32_e64 s0, 0x42b17218, v81
	s_waitcnt lgkmcnt(2)
	v_fmac_f32_e32 v75, v33, v37
	v_mul_f32_e32 v33, v74, v40
	v_cndmask_b32_e64 v59, 0x7f800000, v105, s0
	v_cmp_nlt_f32_e64 s0, 0x42b17218, v82
	s_delay_alu instid0(VALU_DEP_4) | instskip(NEXT) | instid1(VALU_DEP_3)
	v_fmac_f32_e32 v75, v34, v38
	v_fmac_f32_e32 v33, v63, v59
	s_delay_alu instid0(VALU_DEP_3)
	v_cndmask_b32_e64 v40, 0x7f800000, v106, s0
	v_cmp_nlt_f32_e64 s0, 0x42b17218, v83
	v_mul_f32_e32 v34, v74, v25
	v_fmac_f32_e32 v39, v62, v58
	v_mul_f32_e32 v60, v74, v18
	v_mul_f32_e32 v59, v74, v17
	v_cndmask_b32_e64 v25, 0x7f800000, v107, s0
	v_cmp_nlt_f32_e64 s0, 0x42b17218, v84
	v_dual_fmac_f32 v34, v64, v40 :: v_dual_fmac_f32 v75, v35, v39
	v_mul_f32_e32 v35, v74, v26
	v_mul_f32_e32 v62, v74, v20
	s_delay_alu instid0(VALU_DEP_4) | instskip(SKIP_4) | instid1(VALU_DEP_4)
	v_cndmask_b32_e64 v26, 0x7f800000, v108, s0
	v_cmp_nlt_f32_e64 s0, 0x42b17218, v85
	v_dual_fmac_f32 v75, v36, v33 :: v_dual_mul_f32 v40, v74, v27
	v_fmac_f32_e32 v35, v65, v25
	v_mul_f32_e32 v61, v74, v19
	v_cndmask_b32_e64 v25, 0x7f800000, v109, s0
	s_waitcnt lgkmcnt(1)
	v_fmac_f32_e32 v75, v29, v34
	v_cmp_nlt_f32_e64 s0, 0x42b17218, v86
	v_fmac_f32_e32 v40, v66, v26
	s_delay_alu instid0(VALU_DEP_2) | instskip(SKIP_1) | instid1(VALU_DEP_2)
	v_cndmask_b32_e64 v26, 0x7f800000, v110, s0
	v_cmp_nlt_f32_e64 s0, 0x42b17218, v87
	v_dual_mul_f32 v58, v74, v28 :: v_dual_fmac_f32 v59, v68, v26
	s_delay_alu instid0(VALU_DEP_2) | instskip(SKIP_1) | instid1(VALU_DEP_3)
	v_cndmask_b32_e64 v17, 0x7f800000, v111, s0
	v_cmp_nlt_f32_e64 s0, 0x42b17218, v88
	v_fmac_f32_e32 v58, v67, v25
	s_delay_alu instid0(VALU_DEP_3) | instskip(NEXT) | instid1(VALU_DEP_3)
	v_fmac_f32_e32 v60, v69, v17
	v_cndmask_b32_e64 v18, 0x7f800000, v112, s0
	v_cmp_nlt_f32_e64 s0, 0x42b17218, v89
	s_delay_alu instid0(VALU_DEP_2) | instskip(NEXT) | instid1(VALU_DEP_2)
	v_fmac_f32_e32 v61, v70, v18
	v_cndmask_b32_e64 v17, 0x7f800000, v90, s0
	v_fmac_f32_e32 v75, v30, v35
	s_ashr_i64 s[0:1], s[18:19], 29
	s_delay_alu instid0(VALU_DEP_1) | instskip(SKIP_1) | instid1(VALU_DEP_1)
	v_dual_fmac_f32 v62, v56, v17 :: v_dual_fmac_f32 v75, v31, v40
	v_add_co_u32 v17, s0, v47, s0
	v_add_co_ci_u32_e64 v18, s0, s1, v48, s0
	s_delay_alu instid0(VALU_DEP_3) | instskip(SKIP_1) | instid1(VALU_DEP_1)
	v_fmac_f32_e32 v75, v32, v58
	s_waitcnt lgkmcnt(0)
	v_fmac_f32_e32 v75, v21, v59
	s_delay_alu instid0(VALU_DEP_1) | instskip(NEXT) | instid1(VALU_DEP_1)
	v_fmac_f32_e32 v75, v22, v60
	v_fmac_f32_e32 v75, v23, v61
	s_delay_alu instid0(VALU_DEP_1)
	v_fmac_f32_e32 v75, v24, v62
	global_store_b32 v[17:18], v75, off
	s_waitcnt_vscnt null, 0x0
	s_barrier
	buffer_gl0_inv
	s_and_saveexec_b32 s0, vcc_lo
	s_cbranch_execz .LBB8_14
; %bb.13:
	v_mad_i64_i32 v[17:18], null, s2, 12, v[43:44]
	v_mad_i64_i32 v[19:20], null, s10, 12, v[45:46]
	global_load_b32 v17, v[17:18], off
	global_load_b32 v18, v[19:20], off
	s_waitcnt vmcnt(1)
	ds_store_b32 v55, v17
	s_waitcnt vmcnt(0)
	ds_store_b32 v0, v18
.LBB8_14:
	s_or_b32 exec_lo, exec_lo, s0
	v_add_co_u32 v17, s0, v51, s8
	s_delay_alu instid0(VALU_DEP_1)
	v_add_co_ci_u32_e64 v18, s0, s9, v52, s0
	s_waitcnt lgkmcnt(0)
	s_barrier
	buffer_gl0_inv
	global_load_b32 v21, v[17:18], off
	s_mov_b32 s4, exec_lo
	s_waitcnt vmcnt(0)
	v_cmpx_ge_f32_e32 0x41a00000, v21
	s_cbranch_execz .LBB8_16
; %bb.15:
	v_mul_f32_e32 v19, 0x3fb8aa3b, v21
	v_cmp_ngt_f32_e64 s0, 0xc2ce8ed0, v21
	s_delay_alu instid0(VALU_DEP_2) | instskip(SKIP_1) | instid1(VALU_DEP_1)
	v_rndne_f32_e32 v20, v19
	v_fma_f32 v22, 0x3fb8aa3b, v21, -v19
	v_dual_sub_f32 v19, v19, v20 :: v_dual_fmamk_f32 v22, v21, 0x32a5705f, v22
	v_cvt_i32_f32_e32 v20, v20
	s_delay_alu instid0(VALU_DEP_2) | instskip(NEXT) | instid1(VALU_DEP_1)
	v_add_f32_e32 v19, v19, v22
	v_exp_f32_e32 v19, v19
	s_waitcnt_depctr 0xfff
	v_ldexp_f32 v19, v19, v20
	s_delay_alu instid0(VALU_DEP_1) | instskip(SKIP_1) | instid1(VALU_DEP_1)
	v_cndmask_b32_e64 v19, 0, v19, s0
	v_cmp_nlt_f32_e64 s0, 0x42b17218, v21
	v_cndmask_b32_e64 v21, 0x7f800000, v19, s0
	s_delay_alu instid0(VALU_DEP_1) | instskip(SKIP_1) | instid1(VALU_DEP_2)
	v_add_f32_e32 v22, 1.0, v21
	v_cmp_gt_f32_e64 s1, 0x33800000, v21
	v_cvt_f64_f32_e32 v[19:20], v22
	s_delay_alu instid0(VALU_DEP_1) | instskip(SKIP_1) | instid1(VALU_DEP_1)
	v_frexp_exp_i32_f64_e32 v19, v[19:20]
	v_frexp_mant_f32_e32 v20, v22
	v_cmp_gt_f32_e64 s0, 0x3f2aaaab, v20
	v_add_f32_e32 v20, -1.0, v22
	s_delay_alu instid0(VALU_DEP_1) | instskip(NEXT) | instid1(VALU_DEP_3)
	v_sub_f32_e32 v24, v20, v22
	v_subrev_co_ci_u32_e64 v19, s0, 0, v19, s0
	s_mov_b32 s0, 0x3e9b6dac
	s_delay_alu instid0(VALU_DEP_1) | instskip(SKIP_1) | instid1(VALU_DEP_2)
	v_sub_nc_u32_e32 v23, 0, v19
	v_cvt_f32_i32_e32 v19, v19
	v_ldexp_f32 v22, v22, v23
	v_sub_f32_e32 v20, v21, v20
	s_delay_alu instid0(VALU_DEP_2) | instskip(NEXT) | instid1(VALU_DEP_1)
	v_dual_add_f32 v24, 1.0, v24 :: v_dual_add_f32 v25, 1.0, v22
	v_add_f32_e32 v20, v20, v24
	s_delay_alu instid0(VALU_DEP_2) | instskip(NEXT) | instid1(VALU_DEP_2)
	v_add_f32_e32 v24, -1.0, v25
	v_ldexp_f32 v20, v20, v23
	s_delay_alu instid0(VALU_DEP_2) | instskip(NEXT) | instid1(VALU_DEP_1)
	v_dual_add_f32 v23, -1.0, v22 :: v_dual_sub_f32 v24, v22, v24
	v_add_f32_e32 v26, 1.0, v23
	s_delay_alu instid0(VALU_DEP_2) | instskip(NEXT) | instid1(VALU_DEP_2)
	v_add_f32_e32 v24, v20, v24
	v_sub_f32_e32 v22, v22, v26
	s_delay_alu instid0(VALU_DEP_1) | instskip(NEXT) | instid1(VALU_DEP_1)
	v_add_f32_e32 v20, v20, v22
	v_add_f32_e32 v27, v23, v20
	s_delay_alu instid0(VALU_DEP_1) | instskip(NEXT) | instid1(VALU_DEP_1)
	v_dual_sub_f32 v23, v23, v27 :: v_dual_add_f32 v26, v25, v24
	v_add_f32_e32 v20, v20, v23
	s_delay_alu instid0(VALU_DEP_2) | instskip(SKIP_1) | instid1(VALU_DEP_1)
	v_rcp_f32_e32 v22, v26
	v_sub_f32_e32 v25, v25, v26
	v_add_f32_e32 v24, v24, v25
	s_waitcnt_depctr 0xfff
	v_mul_f32_e32 v28, v27, v22
	s_delay_alu instid0(VALU_DEP_1) | instskip(NEXT) | instid1(VALU_DEP_1)
	v_mul_f32_e32 v29, v26, v28
	v_fma_f32 v25, v28, v26, -v29
	s_delay_alu instid0(VALU_DEP_1) | instskip(NEXT) | instid1(VALU_DEP_1)
	v_fmac_f32_e32 v25, v28, v24
	v_add_f32_e32 v30, v29, v25
	s_delay_alu instid0(VALU_DEP_1) | instskip(SKIP_1) | instid1(VALU_DEP_2)
	v_sub_f32_e32 v31, v27, v30
	v_sub_f32_e32 v23, v30, v29
	;; [unrolled: 1-line block ×3, first 2 shown]
	s_delay_alu instid0(VALU_DEP_2) | instskip(NEXT) | instid1(VALU_DEP_2)
	v_sub_f32_e32 v23, v23, v25
	v_sub_f32_e32 v27, v27, v30
	s_delay_alu instid0(VALU_DEP_1) | instskip(NEXT) | instid1(VALU_DEP_1)
	v_add_f32_e32 v20, v20, v27
	v_add_f32_e32 v20, v23, v20
	s_delay_alu instid0(VALU_DEP_1) | instskip(NEXT) | instid1(VALU_DEP_1)
	v_add_f32_e32 v23, v31, v20
	v_mul_f32_e32 v25, v22, v23
	s_delay_alu instid0(VALU_DEP_1) | instskip(NEXT) | instid1(VALU_DEP_1)
	v_dual_sub_f32 v30, v31, v23 :: v_dual_mul_f32 v27, v26, v25
	v_fma_f32 v26, v25, v26, -v27
	s_delay_alu instid0(VALU_DEP_1) | instskip(NEXT) | instid1(VALU_DEP_1)
	v_fmac_f32_e32 v26, v25, v24
	v_add_f32_e32 v24, v27, v26
	s_delay_alu instid0(VALU_DEP_1) | instskip(SKIP_1) | instid1(VALU_DEP_2)
	v_sub_f32_e32 v29, v23, v24
	v_sub_f32_e32 v27, v24, v27
	v_dual_sub_f32 v23, v23, v29 :: v_dual_add_f32 v20, v20, v30
	s_delay_alu instid0(VALU_DEP_1) | instskip(NEXT) | instid1(VALU_DEP_3)
	v_sub_f32_e32 v23, v23, v24
	v_sub_f32_e32 v24, v27, v26
	s_delay_alu instid0(VALU_DEP_2) | instskip(SKIP_1) | instid1(VALU_DEP_2)
	v_add_f32_e32 v20, v20, v23
	v_add_f32_e32 v23, v28, v25
	v_add_f32_e32 v20, v24, v20
	s_delay_alu instid0(VALU_DEP_2) | instskip(NEXT) | instid1(VALU_DEP_2)
	v_sub_f32_e32 v24, v23, v28
	v_add_f32_e32 v20, v29, v20
	s_delay_alu instid0(VALU_DEP_2) | instskip(NEXT) | instid1(VALU_DEP_2)
	v_sub_f32_e32 v24, v25, v24
	v_mul_f32_e32 v20, v22, v20
	s_delay_alu instid0(VALU_DEP_1) | instskip(NEXT) | instid1(VALU_DEP_1)
	v_add_f32_e32 v20, v24, v20
	v_add_f32_e32 v22, v23, v20
	s_delay_alu instid0(VALU_DEP_1) | instskip(NEXT) | instid1(VALU_DEP_1)
	v_mul_f32_e32 v24, v22, v22
	v_fmaak_f32 v25, s0, v24, 0x3ecc95a3
	v_mul_f32_e32 v26, v22, v24
	v_cmp_eq_f32_e64 s0, 0x7f800000, v21
	s_delay_alu instid0(VALU_DEP_3) | instskip(SKIP_2) | instid1(VALU_DEP_4)
	v_fmaak_f32 v24, v24, v25, 0x3f2aaada
	v_ldexp_f32 v25, v22, 1
	v_sub_f32_e32 v22, v22, v23
	s_or_b32 s0, s1, s0
	s_delay_alu instid0(VALU_DEP_3) | instskip(NEXT) | instid1(VALU_DEP_1)
	v_mul_f32_e32 v24, v26, v24
	v_dual_sub_f32 v20, v20, v22 :: v_dual_add_f32 v23, v25, v24
	s_delay_alu instid0(VALU_DEP_1) | instskip(NEXT) | instid1(VALU_DEP_2)
	v_ldexp_f32 v20, v20, 1
	v_sub_f32_e32 v22, v23, v25
	s_delay_alu instid0(VALU_DEP_1) | instskip(NEXT) | instid1(VALU_DEP_1)
	v_sub_f32_e32 v22, v24, v22
	v_add_f32_e32 v20, v20, v22
	s_delay_alu instid0(VALU_DEP_1) | instskip(SKIP_1) | instid1(VALU_DEP_2)
	v_add_f32_e32 v24, v23, v20
	v_mul_f32_e32 v26, 0x3f317218, v19
	v_sub_f32_e32 v23, v24, v23
	s_delay_alu instid0(VALU_DEP_2) | instskip(NEXT) | instid1(VALU_DEP_1)
	v_fma_f32 v25, 0x3f317218, v19, -v26
	v_dual_sub_f32 v20, v20, v23 :: v_dual_fmamk_f32 v19, v19, 0xb102e308, v25
	s_delay_alu instid0(VALU_DEP_1) | instskip(NEXT) | instid1(VALU_DEP_1)
	v_add_f32_e32 v22, v26, v19
	v_add_f32_e32 v25, v22, v24
	v_sub_f32_e32 v26, v22, v26
	s_delay_alu instid0(VALU_DEP_2) | instskip(NEXT) | instid1(VALU_DEP_1)
	v_sub_f32_e32 v27, v25, v22
	v_dual_sub_f32 v19, v19, v26 :: v_dual_sub_f32 v28, v25, v27
	s_delay_alu instid0(VALU_DEP_1) | instskip(NEXT) | instid1(VALU_DEP_2)
	v_dual_sub_f32 v23, v24, v27 :: v_dual_add_f32 v24, v19, v20
	v_sub_f32_e32 v22, v22, v28
	s_delay_alu instid0(VALU_DEP_1) | instskip(NEXT) | instid1(VALU_DEP_1)
	v_dual_add_f32 v22, v23, v22 :: v_dual_sub_f32 v23, v24, v19
	v_add_f32_e32 v22, v24, v22
	s_delay_alu instid0(VALU_DEP_2) | instskip(SKIP_1) | instid1(VALU_DEP_2)
	v_sub_f32_e32 v24, v24, v23
	v_sub_f32_e32 v20, v20, v23
	v_dual_add_f32 v26, v25, v22 :: v_dual_sub_f32 v19, v19, v24
	s_delay_alu instid0(VALU_DEP_1) | instskip(NEXT) | instid1(VALU_DEP_2)
	v_sub_f32_e32 v23, v26, v25
	v_add_f32_e32 v19, v20, v19
	s_delay_alu instid0(VALU_DEP_2) | instskip(NEXT) | instid1(VALU_DEP_1)
	v_sub_f32_e32 v20, v22, v23
	v_add_f32_e32 v19, v19, v20
	s_delay_alu instid0(VALU_DEP_1) | instskip(NEXT) | instid1(VALU_DEP_1)
	v_add_f32_e32 v19, v26, v19
	v_cndmask_b32_e64 v21, v19, v21, s0
.LBB8_16:
	s_or_b32 exec_lo, exec_lo, s4
	v_add_co_u32 v19, s0, v53, s16
	s_delay_alu instid0(VALU_DEP_1) | instskip(NEXT) | instid1(VALU_DEP_3)
	v_add_co_ci_u32_e64 v20, s0, s17, v54, s0
	v_dual_mul_f32 v31, v21, v13 :: v_dual_mov_b32 v32, 0
	v_mul_f32_e32 v36, v21, v14
	global_load_b32 v30, v[19:20], off
	ds_load_b128 v[22:25], v32
	ds_load_b128 v[26:29], v32 offset:16
	ds_load_b128 v[51:54], v32 offset:32
	ds_load_b128 v[63:66], v32 offset:48
	v_mul_f32_e32 v99, 0x3fb8aa3b, v31
	v_dual_mul_f32 v87, v21, v9 :: v_dual_mul_f32 v100, 0x3fb8aa3b, v36
	v_mul_f32_e32 v86, v21, v16
	ds_load_b128 v[67:70], v32 offset:64
	ds_load_b128 v[74:77], v32 offset:80
	v_rndne_f32_e32 v115, v99
	v_mul_f32_e32 v103, 0x3fb8aa3b, v87
	v_dual_mul_f32 v89, v21, v11 :: v_dual_mul_f32 v102, 0x3fb8aa3b, v86
	v_mul_f32_e32 v56, v21, v15
	v_mul_f32_e32 v96, v21, v2
	s_delay_alu instid0(VALU_DEP_4) | instskip(NEXT) | instid1(VALU_DEP_4)
	v_rndne_f32_e32 v123, v103
	v_dual_mul_f32 v98, v21, v4 :: v_dual_mul_f32 v105, 0x3fb8aa3b, v89
	s_delay_alu instid0(VALU_DEP_4)
	v_dual_mul_f32 v88, v21, v10 :: v_dual_mul_f32 v101, 0x3fb8aa3b, v56
	v_mul_f32_e32 v91, v21, v5
	ds_load_b128 v[78:81], v32 offset:96
	ds_load_b128 v[82:85], v32 offset:112
	v_fma_f32 v114, 0x3fb8aa3b, v31, -v99
	v_mul_f32_e32 v104, 0x3fb8aa3b, v88
	v_dual_mul_f32 v90, v21, v12 :: v_dual_mul_f32 v107, 0x3fb8aa3b, v91
	v_mul_f32_e32 v93, v21, v7
	v_fma_f32 v122, 0x3fb8aa3b, v87, -v103
	s_delay_alu instid0(VALU_DEP_3)
	v_dual_sub_f32 v99, v99, v115 :: v_dual_mul_f32 v106, 0x3fb8aa3b, v90
	v_dual_sub_f32 v103, v103, v123 :: v_dual_mul_f32 v32, 0x3fb8aa3b, v96
	v_mul_f32_e32 v113, 0x3fb8aa3b, v98
	v_dual_mul_f32 v92, v21, v6 :: v_dual_mul_f32 v109, 0x3fb8aa3b, v93
	v_mul_f32_e32 v95, v21, v1
	v_fma_f32 v116, 0x3fb8aa3b, v36, -v100
	v_rndne_f32_e32 v117, v100
	s_delay_alu instid0(VALU_DEP_4)
	v_mul_f32_e32 v108, 0x3fb8aa3b, v92
	v_rndne_f32_e32 v121, v102
	v_rndne_f32_e32 v145, v113
	v_fmac_f32_e32 v114, 0x32a5705f, v31
	v_dual_mul_f32 v94, v21, v8 :: v_dual_mul_f32 v111, 0x3fb8aa3b, v95
	v_mul_f32_e32 v97, v21, v3
	v_fma_f32 v118, 0x3fb8aa3b, v56, -v101
	v_rndne_f32_e32 v119, v101
	s_delay_alu instid0(VALU_DEP_4)
	v_mul_f32_e32 v110, 0x3fb8aa3b, v94
	v_fma_f32 v120, 0x3fb8aa3b, v86, -v102
	v_rndne_f32_e32 v127, v105
	v_rndne_f32_e32 v131, v107
	v_fma_f32 v144, 0x3fb8aa3b, v98, -v113
	v_fmac_f32_e32 v116, 0x32a5705f, v36
	v_sub_f32_e32 v100, v100, v117
	v_sub_f32_e32 v113, v113, v145
	v_dual_sub_f32 v102, v102, v121 :: v_dual_add_f32 v99, v99, v114
	v_dual_mul_f32 v112, 0x3fb8aa3b, v97 :: v_dual_sub_f32 v101, v101, v119
	v_fma_f32 v126, 0x3fb8aa3b, v89, -v105
	v_fma_f32 v130, 0x3fb8aa3b, v91, -v107
	v_rndne_f32_e32 v135, v109
	v_dual_fmac_f32 v118, 0x32a5705f, v56 :: v_dual_sub_f32 v105, v105, v127
	v_dual_sub_f32 v107, v107, v131 :: v_dual_add_f32 v100, v100, v116
	v_exp_f32_e32 v99, v99
	v_fma_f32 v134, 0x3fb8aa3b, v93, -v109
	v_fma_f32 v138, 0x3fb8aa3b, v95, -v111
	v_rndne_f32_e32 v139, v111
	v_cvt_i32_f32_e32 v115, v115
	v_dual_fmac_f32 v120, 0x32a5705f, v86 :: v_dual_sub_f32 v109, v109, v135
	v_dual_fmac_f32 v122, 0x32a5705f, v87 :: v_dual_add_f32 v101, v101, v118
	v_exp_f32_e32 v100, v100
	v_fma_f32 v124, 0x3fb8aa3b, v88, -v104
	v_rndne_f32_e32 v125, v104
	v_cvt_i32_f32_e32 v117, v117
	v_fmac_f32_e32 v138, 0x32a5705f, v95
	v_sub_f32_e32 v111, v111, v139
	v_fmac_f32_e32 v130, 0x32a5705f, v91
	v_add_f32_e32 v102, v102, v120
	v_exp_f32_e32 v101, v101
	v_ldexp_f32 v99, v99, v115
	v_cmp_ngt_f32_e64 s0, 0xc2ce8ed0, v31
	v_fma_f32 v132, 0x3fb8aa3b, v92, -v108
	v_cvt_i32_f32_e32 v119, v119
	v_dual_fmac_f32 v124, 0x32a5705f, v88 :: v_dual_add_f32 v103, v103, v122
	v_dual_add_f32 v111, v111, v138 :: v_dual_fmac_f32 v126, 0x32a5705f, v89
	v_dual_add_f32 v107, v107, v130 :: v_dual_sub_f32 v104, v104, v125
	v_exp_f32_e32 v102, v102
	v_ldexp_f32 v100, v100, v117
	s_delay_alu instid0(VALU_DEP_3)
	v_add_f32_e32 v105, v105, v126
	v_cndmask_b32_e64 v99, 0, v99, s0
	v_cmp_ngt_f32_e64 s0, 0xc2ce8ed0, v36
	v_fma_f32 v128, 0x3fb8aa3b, v90, -v106
	v_rndne_f32_e32 v129, v106
	v_cvt_i32_f32_e32 v121, v121
	v_fmac_f32_e32 v132, 0x32a5705f, v92
	v_exp_f32_e32 v103, v103
	v_ldexp_f32 v101, v101, v119
	v_cndmask_b32_e64 v100, 0, v100, s0
	v_cmp_ngt_f32_e64 s0, 0xc2ce8ed0, v56
	v_cvt_i32_f32_e32 v123, v123
	v_fmac_f32_e32 v134, 0x32a5705f, v93
	v_sub_f32_e32 v106, v106, v129
	v_ldexp_f32 v102, v102, v121
	v_cndmask_b32_e64 v101, 0, v101, s0
	v_cmp_ngt_f32_e64 s0, 0xc2ce8ed0, v86
	v_add_f32_e32 v109, v109, v134
	v_rndne_f32_e32 v133, v108
	v_cvt_i32_f32_e32 v125, v125
	v_exp_f32_e32 v105, v105
	v_ldexp_f32 v103, v103, v123
	v_cndmask_b32_e64 v102, 0, v102, s0
	v_cmp_ngt_f32_e64 s0, 0xc2ce8ed0, v87
	v_cvt_i32_f32_e32 v127, v127
	v_fma_f32 v136, 0x3fb8aa3b, v94, -v110
	v_rndne_f32_e32 v137, v110
	v_cvt_i32_f32_e32 v129, v129
	v_cndmask_b32_e64 v103, 0, v103, s0
	v_cmp_ngt_f32_e64 s0, 0xc2ce8ed0, v88
	v_exp_f32_e32 v107, v107
	v_ldexp_f32 v105, v105, v127
	v_cvt_i32_f32_e32 v131, v131
	v_fma_f32 v140, 0x3fb8aa3b, v96, -v32
	v_rndne_f32_e32 v141, v32
	v_exp_f32_e32 v109, v109
	v_fma_f32 v142, 0x3fb8aa3b, v97, -v112
	v_rndne_f32_e32 v143, v112
	v_cvt_i32_f32_e32 v135, v135
	v_fmac_f32_e32 v140, 0x32a5705f, v96
	v_ldexp_f32 v107, v107, v131
	v_fmac_f32_e32 v142, 0x32a5705f, v97
	v_exp_f32_e32 v111, v111
	v_cvt_i32_f32_e32 v139, v139
	v_cvt_i32_f32_e32 v145, v145
	v_ldexp_f32 v109, v109, v135
	s_waitcnt_depctr 0xfff
	v_ldexp_f32 v111, v111, v139
	s_waitcnt vmcnt(0)
	v_dual_mul_f32 v21, v21, v30 :: v_dual_add_f32 v104, v104, v124
	v_fmac_f32_e32 v144, 0x32a5705f, v98
	v_fmac_f32_e32 v128, 0x32a5705f, v90
	v_sub_f32_e32 v108, v108, v133
	v_fmac_f32_e32 v136, 0x32a5705f, v94
	v_exp_f32_e32 v104, v104
	v_add_f32_e32 v113, v113, v144
	v_add_f32_e32 v106, v106, v128
	;; [unrolled: 1-line block ×3, first 2 shown]
	v_sub_f32_e32 v110, v110, v137
	v_cvt_i32_f32_e32 v133, v133
	v_sub_f32_e32 v32, v32, v141
	v_exp_f32_e32 v106, v106
	v_exp_f32_e32 v108, v108
	v_add_f32_e32 v110, v110, v136
	v_ldexp_f32 v104, v104, v125
	v_cvt_i32_f32_e32 v137, v137
	v_sub_f32_e32 v112, v112, v143
	v_add_f32_e32 v32, v32, v140
	v_exp_f32_e32 v110, v110
	v_cndmask_b32_e64 v104, 0, v104, s0
	v_cmp_ngt_f32_e64 s0, 0xc2ce8ed0, v89
	v_ldexp_f32 v106, v106, v129
	v_ldexp_f32 v108, v108, v133
	v_add_f32_e32 v112, v112, v142
	v_exp_f32_e32 v32, v32
	v_cndmask_b32_e64 v105, 0, v105, s0
	v_cmp_ngt_f32_e64 s0, 0xc2ce8ed0, v90
	v_cvt_i32_f32_e32 v141, v141
	v_ldexp_f32 v110, v110, v137
	v_exp_f32_e32 v112, v112
	v_cvt_i32_f32_e32 v143, v143
	v_cndmask_b32_e64 v106, 0, v106, s0
	v_cmp_ngt_f32_e64 s0, 0xc2ce8ed0, v91
	v_exp_f32_e32 v113, v113
	v_ldexp_f32 v32, v32, v141
	s_waitcnt lgkmcnt(7)
	v_mul_f32_e32 v22, v21, v22
	v_cndmask_b32_e64 v107, 0, v107, s0
	v_cmp_ngt_f32_e64 s0, 0xc2ce8ed0, v92
	v_ldexp_f32 v112, v112, v143
	s_delay_alu instid0(VALU_DEP_2) | instskip(SKIP_1) | instid1(TRANS32_DEP_1)
	v_cndmask_b32_e64 v108, 0, v108, s0
	v_cmp_ngt_f32_e64 s0, 0xc2ce8ed0, v93
	v_ldexp_f32 v113, v113, v145
	s_delay_alu instid0(VALU_DEP_2) | instskip(SKIP_1) | instid1(VALU_DEP_1)
	v_cndmask_b32_e64 v109, 0, v109, s0
	v_cmp_ngt_f32_e64 s0, 0xc2ce8ed0, v94
	v_cndmask_b32_e64 v110, 0, v110, s0
	v_cmp_ngt_f32_e64 s0, 0xc2ce8ed0, v95
	s_delay_alu instid0(VALU_DEP_1) | instskip(SKIP_1) | instid1(VALU_DEP_1)
	v_cndmask_b32_e64 v111, 0, v111, s0
	v_cmp_ngt_f32_e64 s0, 0xc2ce8ed0, v96
	v_cndmask_b32_e64 v114, 0, v32, s0
	v_cmp_ngt_f32_e64 s0, 0xc2ce8ed0, v97
	s_delay_alu instid0(VALU_DEP_1) | instskip(SKIP_1) | instid1(VALU_DEP_1)
	v_cndmask_b32_e64 v112, 0, v112, s0
	v_cmp_nlt_f32_e64 s0, 0x42b17218, v31
	v_cndmask_b32_e64 v30, 0x7f800000, v99, s0
	v_cmp_ngt_f32_e64 s0, 0xc2ce8ed0, v98
	s_delay_alu instid0(VALU_DEP_2) | instskip(NEXT) | instid1(VALU_DEP_2)
	v_fmac_f32_e32 v22, v72, v30
	v_cndmask_b32_e64 v99, 0, v113, s0
	v_cmp_nlt_f32_e64 s0, 0x42b17218, v36
	v_mul_f32_e32 v36, v21, v23
	v_mul_f32_e32 v23, v21, v24
	;; [unrolled: 1-line block ×3, first 2 shown]
	s_waitcnt lgkmcnt(6)
	v_mul_f32_e32 v25, v21, v26
	v_cndmask_b32_e64 v31, 0x7f800000, v100, s0
	v_cmp_nlt_f32_e64 s0, 0x42b17218, v56
	s_waitcnt lgkmcnt(3)
	v_fma_f32 v56, v67, v22, 0
	v_mul_f32_e32 v26, v21, v27
	v_mul_f32_e32 v27, v21, v28
	v_fmac_f32_e32 v36, v73, v31
	v_cndmask_b32_e64 v30, 0x7f800000, v101, s0
	v_cmp_nlt_f32_e64 s0, 0x42b17218, v86
	v_mul_f32_e32 v28, v21, v29
	s_delay_alu instid0(VALU_DEP_4) | instskip(NEXT) | instid1(VALU_DEP_4)
	v_dual_mul_f32 v29, v21, v51 :: v_dual_fmac_f32 v56, v68, v36
	v_fmac_f32_e32 v23, v57, v30
	s_delay_alu instid0(VALU_DEP_4) | instskip(SKIP_1) | instid1(VALU_DEP_3)
	v_cndmask_b32_e64 v31, 0x7f800000, v102, s0
	v_cmp_nlt_f32_e64 s0, 0x42b17218, v87
	v_fmac_f32_e32 v56, v69, v23
	s_delay_alu instid0(VALU_DEP_3) | instskip(NEXT) | instid1(VALU_DEP_3)
	v_fmac_f32_e32 v24, v71, v31
	v_cndmask_b32_e64 v30, 0x7f800000, v103, s0
	v_cmp_nlt_f32_e64 s0, 0x42b17218, v88
	s_delay_alu instid0(VALU_DEP_2) | instskip(NEXT) | instid1(VALU_DEP_2)
	v_dual_fmac_f32 v56, v70, v24 :: v_dual_fmac_f32 v25, v37, v30
	v_cndmask_b32_e64 v31, 0x7f800000, v104, s0
	v_cmp_nlt_f32_e64 s0, 0x42b17218, v89
	s_waitcnt lgkmcnt(2)
	s_delay_alu instid0(VALU_DEP_3) | instskip(NEXT) | instid1(VALU_DEP_3)
	v_fmac_f32_e32 v56, v74, v25
	v_fmac_f32_e32 v26, v38, v31
	s_delay_alu instid0(VALU_DEP_3) | instskip(SKIP_1) | instid1(VALU_DEP_3)
	v_cndmask_b32_e64 v30, 0x7f800000, v105, s0
	v_cmp_nlt_f32_e64 s0, 0x42b17218, v90
	v_fmac_f32_e32 v56, v75, v26
	s_delay_alu instid0(VALU_DEP_3) | instskip(NEXT) | instid1(VALU_DEP_3)
	v_fmac_f32_e32 v27, v39, v30
	v_cndmask_b32_e64 v31, 0x7f800000, v106, s0
	v_cmp_nlt_f32_e64 s0, 0x42b17218, v91
	v_mul_f32_e32 v30, v21, v52
	s_delay_alu instid0(VALU_DEP_4) | instskip(NEXT) | instid1(VALU_DEP_4)
	v_fmac_f32_e32 v56, v76, v27
	v_fmac_f32_e32 v28, v33, v31
	s_delay_alu instid0(VALU_DEP_4) | instskip(SKIP_2) | instid1(VALU_DEP_4)
	v_cndmask_b32_e64 v32, 0x7f800000, v107, s0
	v_cmp_nlt_f32_e64 s0, 0x42b17218, v92
	v_mul_f32_e32 v31, v21, v53
	v_fmac_f32_e32 v56, v77, v28
	s_delay_alu instid0(VALU_DEP_4) | instskip(NEXT) | instid1(VALU_DEP_4)
	v_fmac_f32_e32 v29, v34, v32
	v_cndmask_b32_e64 v33, 0x7f800000, v108, s0
	v_cmp_nlt_f32_e64 s0, 0x42b17218, v93
	v_mul_f32_e32 v32, v21, v54
	s_waitcnt lgkmcnt(1)
	v_fmac_f32_e32 v56, v78, v29
	v_fmac_f32_e32 v30, v35, v33
	v_cndmask_b32_e64 v34, 0x7f800000, v109, s0
	v_cmp_nlt_f32_e64 s0, 0x42b17218, v94
	s_delay_alu instid0(VALU_DEP_3) | instskip(NEXT) | instid1(VALU_DEP_3)
	v_dual_mul_f32 v33, v21, v63 :: v_dual_fmac_f32 v56, v79, v30
	v_fmac_f32_e32 v31, v40, v34
	s_delay_alu instid0(VALU_DEP_3) | instskip(SKIP_2) | instid1(VALU_DEP_4)
	v_cndmask_b32_e64 v35, 0x7f800000, v110, s0
	v_cmp_nlt_f32_e64 s0, 0x42b17218, v95
	v_mul_f32_e32 v34, v21, v64
	v_fmac_f32_e32 v56, v80, v31
	s_delay_alu instid0(VALU_DEP_4) | instskip(NEXT) | instid1(VALU_DEP_4)
	v_fmac_f32_e32 v32, v58, v35
	v_cndmask_b32_e64 v37, 0x7f800000, v111, s0
	v_cmp_nlt_f32_e64 s0, 0x42b17218, v96
	v_mul_f32_e32 v35, v21, v65
	v_mul_f32_e32 v21, v21, v66
	s_delay_alu instid0(VALU_DEP_4) | instskip(NEXT) | instid1(VALU_DEP_4)
	v_dual_fmac_f32 v56, v81, v32 :: v_dual_fmac_f32 v33, v59, v37
	v_cndmask_b32_e64 v38, 0x7f800000, v114, s0
	v_cmp_nlt_f32_e64 s0, 0x42b17218, v97
	s_waitcnt lgkmcnt(0)
	s_delay_alu instid0(VALU_DEP_3) | instskip(NEXT) | instid1(VALU_DEP_3)
	v_fmac_f32_e32 v56, v82, v33
	v_fmac_f32_e32 v34, v60, v38
	s_delay_alu instid0(VALU_DEP_3) | instskip(SKIP_1) | instid1(VALU_DEP_2)
	v_cndmask_b32_e64 v37, 0x7f800000, v112, s0
	v_cmp_nlt_f32_e64 s0, 0x42b17218, v98
	v_dual_fmac_f32 v56, v83, v34 :: v_dual_fmac_f32 v35, v61, v37
	s_delay_alu instid0(VALU_DEP_2) | instskip(NEXT) | instid1(VALU_DEP_1)
	v_cndmask_b32_e64 v38, 0x7f800000, v99, s0
	v_dual_fmac_f32 v56, v84, v35 :: v_dual_fmac_f32 v21, v62, v38
	v_mad_i64_i32 v[37:38], null, s12, 12, v[47:48]
	s_delay_alu instid0(VALU_DEP_2)
	v_fmac_f32_e32 v56, v85, v21
	global_store_b32 v[37:38], v56, off
	s_waitcnt_vscnt null, 0x0
	s_barrier
	buffer_gl0_inv
	s_and_saveexec_b32 s1, vcc_lo
	s_cbranch_execz .LBB8_18
; %bb.17:
	s_lshl_b64 s[22:23], s[2:3], 4
	s_delay_alu instid0(SALU_CYCLE_1) | instskip(NEXT) | instid1(VALU_DEP_1)
	v_add_co_u32 v37, s0, v43, s22
	v_add_co_ci_u32_e64 v38, s0, s23, v44, s0
	s_lshl_b64 s[22:23], s[10:11], 4
	s_delay_alu instid0(SALU_CYCLE_1) | instskip(NEXT) | instid1(VALU_DEP_1)
	v_add_co_u32 v39, s0, v45, s22
	v_add_co_ci_u32_e64 v40, s0, s23, v46, s0
	global_load_b32 v37, v[37:38], off
	global_load_b32 v38, v[39:40], off
	s_waitcnt vmcnt(1)
	ds_store_b32 v55, v37
	s_waitcnt vmcnt(0)
	ds_store_b32 v0, v38
.LBB8_18:
	s_or_b32 exec_lo, exec_lo, s1
	v_add_co_u32 v17, s0, v17, s8
	s_delay_alu instid0(VALU_DEP_1)
	v_add_co_ci_u32_e64 v18, s0, s9, v18, s0
	s_waitcnt lgkmcnt(0)
	s_barrier
	buffer_gl0_inv
	global_load_b32 v37, v[17:18], off
	s_mov_b32 s3, exec_lo
	s_waitcnt vmcnt(0)
	v_cmpx_ge_f32_e32 0x41a00000, v37
	s_cbranch_execz .LBB8_20
; %bb.19:
	v_mul_f32_e32 v38, 0x3fb8aa3b, v37
	v_cmp_ngt_f32_e64 s0, 0xc2ce8ed0, v37
	s_delay_alu instid0(VALU_DEP_2) | instskip(SKIP_1) | instid1(VALU_DEP_2)
	v_rndne_f32_e32 v39, v38
	v_fma_f32 v40, 0x3fb8aa3b, v37, -v38
	v_sub_f32_e32 v38, v38, v39
	s_delay_alu instid0(VALU_DEP_2) | instskip(SKIP_1) | instid1(VALU_DEP_2)
	v_fmamk_f32 v40, v37, 0x32a5705f, v40
	v_cvt_i32_f32_e32 v39, v39
	v_add_f32_e32 v38, v38, v40
	s_delay_alu instid0(VALU_DEP_1) | instskip(SKIP_2) | instid1(VALU_DEP_1)
	v_exp_f32_e32 v38, v38
	s_waitcnt_depctr 0xfff
	v_ldexp_f32 v38, v38, v39
	v_cndmask_b32_e64 v38, 0, v38, s0
	v_cmp_nlt_f32_e64 s0, 0x42b17218, v37
	s_delay_alu instid0(VALU_DEP_1) | instskip(NEXT) | instid1(VALU_DEP_1)
	v_cndmask_b32_e64 v39, 0x7f800000, v38, s0
	v_add_f32_e32 v40, 1.0, v39
	v_cmp_gt_f32_e64 s1, 0x33800000, v39
	s_delay_alu instid0(VALU_DEP_2) | instskip(NEXT) | instid1(VALU_DEP_1)
	v_cvt_f64_f32_e32 v[37:38], v40
	v_frexp_exp_i32_f64_e32 v37, v[37:38]
	v_frexp_mant_f32_e32 v38, v40
	s_delay_alu instid0(VALU_DEP_1) | instskip(SKIP_1) | instid1(VALU_DEP_1)
	v_cmp_gt_f32_e64 s0, 0x3f2aaaab, v38
	v_add_f32_e32 v38, -1.0, v40
	v_sub_f32_e32 v52, v38, v40
	v_sub_f32_e32 v38, v39, v38
	s_delay_alu instid0(VALU_DEP_2) | instskip(NEXT) | instid1(VALU_DEP_1)
	v_add_f32_e32 v52, 1.0, v52
	v_add_f32_e32 v38, v38, v52
	v_subrev_co_ci_u32_e64 v37, s0, 0, v37, s0
	s_mov_b32 s0, 0x3e9b6dac
	s_delay_alu instid0(VALU_DEP_1) | instskip(SKIP_1) | instid1(VALU_DEP_2)
	v_sub_nc_u32_e32 v51, 0, v37
	v_cvt_f32_i32_e32 v37, v37
	v_ldexp_f32 v40, v40, v51
	v_ldexp_f32 v38, v38, v51
	s_delay_alu instid0(VALU_DEP_2) | instskip(NEXT) | instid1(VALU_DEP_1)
	v_add_f32_e32 v53, 1.0, v40
	v_dual_add_f32 v51, -1.0, v40 :: v_dual_add_f32 v52, -1.0, v53
	s_delay_alu instid0(VALU_DEP_1) | instskip(NEXT) | instid1(VALU_DEP_2)
	v_add_f32_e32 v54, 1.0, v51
	v_sub_f32_e32 v52, v40, v52
	s_delay_alu instid0(VALU_DEP_2) | instskip(NEXT) | instid1(VALU_DEP_2)
	v_sub_f32_e32 v40, v40, v54
	v_add_f32_e32 v52, v38, v52
	s_delay_alu instid0(VALU_DEP_2) | instskip(NEXT) | instid1(VALU_DEP_2)
	v_add_f32_e32 v38, v38, v40
	v_add_f32_e32 v54, v53, v52
	s_delay_alu instid0(VALU_DEP_2) | instskip(NEXT) | instid1(VALU_DEP_2)
	v_add_f32_e32 v56, v51, v38
	v_rcp_f32_e32 v40, v54
	v_sub_f32_e32 v53, v53, v54
	s_delay_alu instid0(VALU_DEP_1) | instskip(SKIP_2) | instid1(VALU_DEP_1)
	v_dual_sub_f32 v51, v51, v56 :: v_dual_add_f32 v52, v52, v53
	s_waitcnt_depctr 0xfff
	v_dual_add_f32 v38, v38, v51 :: v_dual_mul_f32 v57, v56, v40
	v_mul_f32_e32 v58, v54, v57
	s_delay_alu instid0(VALU_DEP_1) | instskip(NEXT) | instid1(VALU_DEP_1)
	v_fma_f32 v53, v57, v54, -v58
	v_fmac_f32_e32 v53, v57, v52
	s_delay_alu instid0(VALU_DEP_1) | instskip(NEXT) | instid1(VALU_DEP_1)
	v_add_f32_e32 v59, v58, v53
	v_dual_sub_f32 v60, v56, v59 :: v_dual_sub_f32 v51, v59, v58
	s_delay_alu instid0(VALU_DEP_1) | instskip(NEXT) | instid1(VALU_DEP_1)
	v_dual_sub_f32 v56, v56, v60 :: v_dual_sub_f32 v51, v51, v53
	v_sub_f32_e32 v56, v56, v59
	s_delay_alu instid0(VALU_DEP_1) | instskip(NEXT) | instid1(VALU_DEP_1)
	v_add_f32_e32 v38, v38, v56
	v_add_f32_e32 v38, v51, v38
	s_delay_alu instid0(VALU_DEP_1) | instskip(NEXT) | instid1(VALU_DEP_1)
	v_add_f32_e32 v51, v60, v38
	v_mul_f32_e32 v53, v40, v51
	s_delay_alu instid0(VALU_DEP_1) | instskip(NEXT) | instid1(VALU_DEP_1)
	v_dual_sub_f32 v59, v60, v51 :: v_dual_mul_f32 v56, v54, v53
	v_add_f32_e32 v38, v38, v59
	s_delay_alu instid0(VALU_DEP_2) | instskip(NEXT) | instid1(VALU_DEP_1)
	v_fma_f32 v54, v53, v54, -v56
	v_fmac_f32_e32 v54, v53, v52
	s_delay_alu instid0(VALU_DEP_1) | instskip(NEXT) | instid1(VALU_DEP_1)
	v_add_f32_e32 v52, v56, v54
	v_sub_f32_e32 v58, v51, v52
	s_delay_alu instid0(VALU_DEP_1) | instskip(NEXT) | instid1(VALU_DEP_1)
	v_dual_sub_f32 v56, v52, v56 :: v_dual_sub_f32 v51, v51, v58
	v_dual_sub_f32 v51, v51, v52 :: v_dual_sub_f32 v52, v56, v54
	s_delay_alu instid0(VALU_DEP_1) | instskip(NEXT) | instid1(VALU_DEP_1)
	v_dual_add_f32 v38, v38, v51 :: v_dual_add_f32 v51, v57, v53
	v_add_f32_e32 v38, v52, v38
	s_delay_alu instid0(VALU_DEP_2) | instskip(NEXT) | instid1(VALU_DEP_2)
	v_sub_f32_e32 v52, v51, v57
	v_add_f32_e32 v38, v58, v38
	s_delay_alu instid0(VALU_DEP_2) | instskip(NEXT) | instid1(VALU_DEP_2)
	v_sub_f32_e32 v52, v53, v52
	v_mul_f32_e32 v38, v40, v38
	s_delay_alu instid0(VALU_DEP_1) | instskip(NEXT) | instid1(VALU_DEP_1)
	v_add_f32_e32 v38, v52, v38
	v_add_f32_e32 v40, v51, v38
	s_delay_alu instid0(VALU_DEP_1) | instskip(NEXT) | instid1(VALU_DEP_1)
	v_mul_f32_e32 v52, v40, v40
	v_fmaak_f32 v53, s0, v52, 0x3ecc95a3
	v_mul_f32_e32 v54, v40, v52
	v_cmp_eq_f32_e64 s0, 0x7f800000, v39
	s_delay_alu instid0(VALU_DEP_3) | instskip(SKIP_2) | instid1(VALU_DEP_4)
	v_fmaak_f32 v52, v52, v53, 0x3f2aaada
	v_ldexp_f32 v53, v40, 1
	v_sub_f32_e32 v40, v40, v51
	s_or_b32 s0, s1, s0
	s_delay_alu instid0(VALU_DEP_3) | instskip(SKIP_1) | instid1(VALU_DEP_3)
	v_mul_f32_e32 v52, v54, v52
	v_mul_f32_e32 v54, 0x3f317218, v37
	v_sub_f32_e32 v38, v38, v40
	s_delay_alu instid0(VALU_DEP_3) | instskip(NEXT) | instid1(VALU_DEP_2)
	v_add_f32_e32 v51, v53, v52
	v_ldexp_f32 v38, v38, 1
	s_delay_alu instid0(VALU_DEP_2) | instskip(SKIP_1) | instid1(VALU_DEP_1)
	v_sub_f32_e32 v40, v51, v53
	v_fma_f32 v53, 0x3f317218, v37, -v54
	v_dual_sub_f32 v40, v52, v40 :: v_dual_fmamk_f32 v37, v37, 0xb102e308, v53
	s_delay_alu instid0(VALU_DEP_1) | instskip(NEXT) | instid1(VALU_DEP_2)
	v_add_f32_e32 v38, v38, v40
	v_add_f32_e32 v40, v54, v37
	s_delay_alu instid0(VALU_DEP_2) | instskip(NEXT) | instid1(VALU_DEP_2)
	v_add_f32_e32 v52, v51, v38
	v_sub_f32_e32 v54, v40, v54
	s_delay_alu instid0(VALU_DEP_2) | instskip(SKIP_1) | instid1(VALU_DEP_3)
	v_add_f32_e32 v53, v40, v52
	v_sub_f32_e32 v51, v52, v51
	v_sub_f32_e32 v37, v37, v54
	s_delay_alu instid0(VALU_DEP_3) | instskip(NEXT) | instid1(VALU_DEP_1)
	v_sub_f32_e32 v56, v53, v40
	v_dual_sub_f32 v38, v38, v51 :: v_dual_sub_f32 v57, v53, v56
	s_delay_alu instid0(VALU_DEP_1) | instskip(NEXT) | instid1(VALU_DEP_2)
	v_dual_sub_f32 v51, v52, v56 :: v_dual_add_f32 v52, v37, v38
	v_sub_f32_e32 v40, v40, v57
	s_delay_alu instid0(VALU_DEP_1) | instskip(NEXT) | instid1(VALU_DEP_1)
	v_dual_add_f32 v40, v51, v40 :: v_dual_sub_f32 v51, v52, v37
	v_add_f32_e32 v40, v52, v40
	s_delay_alu instid0(VALU_DEP_2) | instskip(SKIP_1) | instid1(VALU_DEP_3)
	v_sub_f32_e32 v52, v52, v51
	v_sub_f32_e32 v38, v38, v51
	v_add_f32_e32 v54, v53, v40
	s_delay_alu instid0(VALU_DEP_3) | instskip(NEXT) | instid1(VALU_DEP_2)
	v_sub_f32_e32 v37, v37, v52
	v_sub_f32_e32 v51, v54, v53
	s_delay_alu instid0(VALU_DEP_1) | instskip(NEXT) | instid1(VALU_DEP_1)
	v_dual_add_f32 v37, v38, v37 :: v_dual_sub_f32 v38, v40, v51
	v_add_f32_e32 v37, v37, v38
	s_delay_alu instid0(VALU_DEP_1) | instskip(NEXT) | instid1(VALU_DEP_1)
	v_add_f32_e32 v37, v54, v37
	v_cndmask_b32_e64 v37, v37, v39, s0
.LBB8_20:
	s_or_b32 exec_lo, exec_lo, s3
	v_add_co_u32 v19, s0, v19, s16
	s_delay_alu instid0(VALU_DEP_1) | instskip(NEXT) | instid1(VALU_DEP_3)
	v_add_co_ci_u32_e64 v20, s0, s17, v20, s0
	v_dual_mul_f32 v39, v37, v13 :: v_dual_mov_b32 v40, 0
	v_mul_f32_e32 v84, v37, v14
	global_load_b32 v38, v[19:20], off
	ds_load_b128 v[51:54], v40
	ds_load_b128 v[56:59], v40 offset:16
	ds_load_b128 v[60:63], v40 offset:32
	;; [unrolled: 1-line block ×3, first 2 shown]
	v_mul_f32_e32 v99, 0x3fb8aa3b, v39
	v_dual_mul_f32 v85, v37, v15 :: v_dual_mul_f32 v100, 0x3fb8aa3b, v84
	v_mul_f32_e32 v86, v37, v16
	ds_load_b128 v[68:71], v40 offset:64
	ds_load_b128 v[72:75], v40 offset:80
	v_rndne_f32_e32 v115, v99
	v_mul_f32_e32 v101, 0x3fb8aa3b, v85
	v_dual_mul_f32 v87, v37, v9 :: v_dual_mul_f32 v102, 0x3fb8aa3b, v86
	v_mul_f32_e32 v88, v37, v10
	v_mul_f32_e32 v98, v37, v4
	ds_load_b128 v[76:79], v40 offset:96
	ds_load_b128 v[80:83], v40 offset:112
	v_mul_f32_e32 v103, 0x3fb8aa3b, v87
	v_dual_mul_f32 v89, v37, v11 :: v_dual_mul_f32 v104, 0x3fb8aa3b, v88
	v_mul_f32_e32 v90, v37, v12
	v_fma_f32 v114, 0x3fb8aa3b, v39, -v99
	v_sub_f32_e32 v99, v99, v115
	s_delay_alu instid0(VALU_DEP_4) | instskip(NEXT) | instid1(VALU_DEP_4)
	v_mul_f32_e32 v105, 0x3fb8aa3b, v89
	v_dual_mul_f32 v91, v37, v5 :: v_dual_mul_f32 v106, 0x3fb8aa3b, v90
	v_mul_f32_e32 v92, v37, v6
	v_fma_f32 v116, 0x3fb8aa3b, v84, -v100
	v_rndne_f32_e32 v117, v100
	s_delay_alu instid0(VALU_DEP_4) | instskip(NEXT) | instid1(VALU_DEP_4)
	v_mul_f32_e32 v107, 0x3fb8aa3b, v91
	v_dual_mul_f32 v93, v37, v7 :: v_dual_mul_f32 v108, 0x3fb8aa3b, v92
	v_mul_f32_e32 v94, v37, v8
	v_fma_f32 v122, 0x3fb8aa3b, v87, -v103
	v_mul_f32_e32 v113, 0x3fb8aa3b, v98
	s_delay_alu instid0(VALU_DEP_4) | instskip(NEXT) | instid1(VALU_DEP_4)
	v_mul_f32_e32 v109, 0x3fb8aa3b, v93
	v_dual_mul_f32 v95, v37, v1 :: v_dual_mul_f32 v110, 0x3fb8aa3b, v94
	v_mul_f32_e32 v96, v37, v2
	s_delay_alu instid0(VALU_DEP_4) | instskip(SKIP_1) | instid1(VALU_DEP_4)
	v_rndne_f32_e32 v145, v113
	v_fmac_f32_e32 v114, 0x32a5705f, v39
	v_mul_f32_e32 v111, 0x3fb8aa3b, v95
	s_delay_alu instid0(VALU_DEP_4) | instskip(SKIP_3) | instid1(VALU_DEP_4)
	v_dual_mul_f32 v97, v37, v3 :: v_dual_mul_f32 v40, 0x3fb8aa3b, v96
	v_fma_f32 v118, 0x3fb8aa3b, v85, -v101
	v_rndne_f32_e32 v119, v101
	v_rndne_f32_e32 v123, v103
	v_mul_f32_e32 v112, 0x3fb8aa3b, v97
	v_fma_f32 v144, 0x3fb8aa3b, v98, -v113
	s_delay_alu instid0(VALU_DEP_4) | instskip(NEXT) | instid1(VALU_DEP_4)
	v_dual_fmac_f32 v116, 0x32a5705f, v84 :: v_dual_sub_f32 v101, v101, v119
	v_dual_sub_f32 v100, v100, v117 :: v_dual_sub_f32 v103, v103, v123
	v_dual_sub_f32 v113, v113, v145 :: v_dual_fmac_f32 v122, 0x32a5705f, v87
	v_add_f32_e32 v99, v99, v114
	v_fma_f32 v120, 0x3fb8aa3b, v86, -v102
	v_rndne_f32_e32 v121, v102
	v_rndne_f32_e32 v125, v104
	;; [unrolled: 1-line block ×3, first 2 shown]
	v_fmac_f32_e32 v118, 0x32a5705f, v85
	v_add_f32_e32 v100, v100, v116
	v_exp_f32_e32 v99, v99
	v_fma_f32 v124, 0x3fb8aa3b, v88, -v104
	v_fma_f32 v126, 0x3fb8aa3b, v89, -v105
	v_rndne_f32_e32 v131, v107
	v_rndne_f32_e32 v135, v109
	v_cvt_i32_f32_e32 v115, v115
	v_fmac_f32_e32 v120, 0x32a5705f, v86
	v_dual_sub_f32 v102, v102, v121 :: v_dual_sub_f32 v105, v105, v127
	v_dual_sub_f32 v104, v104, v125 :: v_dual_add_f32 v101, v101, v118
	v_exp_f32_e32 v100, v100
	v_fma_f32 v130, 0x3fb8aa3b, v91, -v107
	v_fma_f32 v134, 0x3fb8aa3b, v93, -v109
	v_cvt_i32_f32_e32 v117, v117
	v_sub_f32_e32 v107, v107, v131
	v_dual_sub_f32 v109, v109, v135 :: v_dual_add_f32 v102, v102, v120
	v_exp_f32_e32 v101, v101
	v_ldexp_f32 v99, v99, v115
	v_cmp_ngt_f32_e64 s0, 0xc2ce8ed0, v39
	v_rndne_f32_e32 v139, v111
	v_cvt_i32_f32_e32 v119, v119
	v_fmac_f32_e32 v124, 0x32a5705f, v88
	v_dual_fmac_f32 v126, 0x32a5705f, v89 :: v_dual_add_f32 v103, v103, v122
	v_exp_f32_e32 v102, v102
	v_ldexp_f32 v100, v100, v117
	v_cndmask_b32_e64 v99, 0, v99, s0
	v_cmp_ngt_f32_e64 s0, 0xc2ce8ed0, v84
	v_fma_f32 v128, 0x3fb8aa3b, v90, -v106
	v_rndne_f32_e32 v129, v106
	v_fma_f32 v138, 0x3fb8aa3b, v95, -v111
	v_cvt_i32_f32_e32 v121, v121
	v_sub_f32_e32 v111, v111, v139
	v_exp_f32_e32 v103, v103
	v_ldexp_f32 v101, v101, v119
	v_cndmask_b32_e64 v100, 0, v100, s0
	v_cmp_ngt_f32_e64 s0, 0xc2ce8ed0, v85
	v_cvt_i32_f32_e32 v123, v123
	v_dual_sub_f32 v106, v106, v129 :: v_dual_add_f32 v105, v105, v126
	v_fmac_f32_e32 v144, 0x32a5705f, v98
	v_fmac_f32_e32 v128, 0x32a5705f, v90
	v_ldexp_f32 v102, v102, v121
	v_cndmask_b32_e64 v101, 0, v101, s0
	v_cmp_ngt_f32_e64 s0, 0xc2ce8ed0, v86
	v_add_f32_e32 v113, v113, v144
	v_fma_f32 v132, 0x3fb8aa3b, v92, -v108
	v_rndne_f32_e32 v133, v108
	v_cvt_i32_f32_e32 v125, v125
	v_add_f32_e32 v106, v106, v128
	v_exp_f32_e32 v105, v105
	v_ldexp_f32 v103, v103, v123
	v_cndmask_b32_e64 v102, 0, v102, s0
	v_cmp_ngt_f32_e64 s0, 0xc2ce8ed0, v87
	v_cvt_i32_f32_e32 v127, v127
	v_exp_f32_e32 v106, v106
	v_fma_f32 v136, 0x3fb8aa3b, v94, -v110
	v_rndne_f32_e32 v137, v110
	v_cndmask_b32_e64 v103, 0, v103, s0
	v_cmp_ngt_f32_e64 s0, 0xc2ce8ed0, v88
	v_cvt_i32_f32_e32 v129, v129
	v_ldexp_f32 v105, v105, v127
	v_cvt_i32_f32_e32 v131, v131
	v_sub_f32_e32 v110, v110, v137
	v_fma_f32 v140, 0x3fb8aa3b, v96, -v40
	v_ldexp_f32 v106, v106, v129
	v_rndne_f32_e32 v141, v40
	v_fma_f32 v142, 0x3fb8aa3b, v97, -v112
	v_rndne_f32_e32 v143, v112
	v_cvt_i32_f32_e32 v135, v135
	v_cvt_i32_f32_e32 v137, v137
	v_sub_f32_e32 v40, v40, v141
	v_cvt_i32_f32_e32 v139, v139
	v_cvt_i32_f32_e32 v141, v141
	v_exp_f32_e32 v113, v113
	v_cvt_i32_f32_e32 v145, v145
	s_waitcnt_depctr 0xfff
	v_ldexp_f32 v113, v113, v145
	s_waitcnt vmcnt(0)
	v_mul_f32_e32 v114, v37, v38
	v_add_f32_e32 v104, v104, v124
	v_fmac_f32_e32 v134, 0x32a5705f, v93
	v_fmac_f32_e32 v138, 0x32a5705f, v95
	s_waitcnt lgkmcnt(7)
	v_dual_sub_f32 v108, v108, v133 :: v_dual_mul_f32 v37, v114, v51
	v_exp_f32_e32 v104, v104
	v_dual_fmac_f32 v130, 0x32a5705f, v91 :: v_dual_add_f32 v109, v109, v134
	v_dual_fmac_f32 v132, 0x32a5705f, v92 :: v_dual_add_f32 v111, v111, v138
	v_fmac_f32_e32 v136, 0x32a5705f, v94
	s_delay_alu instid0(VALU_DEP_3) | instskip(SKIP_1) | instid1(VALU_DEP_4)
	v_add_f32_e32 v107, v107, v130
	v_cvt_i32_f32_e32 v133, v133
	v_add_f32_e32 v108, v108, v132
	v_exp_f32_e32 v109, v109
	s_delay_alu instid0(TRANS32_DEP_2)
	v_ldexp_f32 v104, v104, v125
	v_exp_f32_e32 v107, v107
	v_add_f32_e32 v110, v110, v136
	v_exp_f32_e32 v108, v108
	v_fmac_f32_e32 v140, 0x32a5705f, v96
	v_cndmask_b32_e64 v104, 0, v104, s0
	v_cmp_ngt_f32_e64 s0, 0xc2ce8ed0, v89
	v_exp_f32_e32 v110, v110
	v_fmac_f32_e32 v142, 0x32a5705f, v97
	v_sub_f32_e32 v112, v112, v143
	v_add_f32_e32 v40, v40, v140
	v_cndmask_b32_e64 v105, 0, v105, s0
	v_cmp_ngt_f32_e64 s0, 0xc2ce8ed0, v90
	v_ldexp_f32 v107, v107, v131
	v_ldexp_f32 v108, v108, v133
	v_exp_f32_e32 v111, v111
	v_ldexp_f32 v109, v109, v135
	v_cndmask_b32_e64 v106, 0, v106, s0
	v_cmp_ngt_f32_e64 s0, 0xc2ce8ed0, v91
	v_add_f32_e32 v112, v112, v142
	v_exp_f32_e32 v40, v40
	v_ldexp_f32 v110, v110, v137
	v_cvt_i32_f32_e32 v143, v143
	v_cndmask_b32_e64 v107, 0, v107, s0
	v_cmp_ngt_f32_e64 s0, 0xc2ce8ed0, v92
	v_exp_f32_e32 v112, v112
	v_ldexp_f32 v111, v111, v139
	v_mul_f32_e32 v38, v114, v52
	s_delay_alu instid0(VALU_DEP_3) | instskip(SKIP_2) | instid1(VALU_DEP_2)
	v_cndmask_b32_e64 v108, 0, v108, s0
	v_cmp_ngt_f32_e64 s0, 0xc2ce8ed0, v93
	v_ldexp_f32 v40, v40, v141
	v_cndmask_b32_e64 v109, 0, v109, s0
	v_cmp_ngt_f32_e64 s0, 0xc2ce8ed0, v94
	s_delay_alu instid0(TRANS32_DEP_1) | instskip(NEXT) | instid1(VALU_DEP_2)
	v_ldexp_f32 v112, v112, v143
	v_cndmask_b32_e64 v110, 0, v110, s0
	v_cmp_ngt_f32_e64 s0, 0xc2ce8ed0, v95
	s_delay_alu instid0(VALU_DEP_1) | instskip(SKIP_1) | instid1(VALU_DEP_1)
	v_cndmask_b32_e64 v111, 0, v111, s0
	v_cmp_ngt_f32_e64 s0, 0xc2ce8ed0, v96
	v_cndmask_b32_e64 v40, 0, v40, s0
	v_cmp_ngt_f32_e64 s0, 0xc2ce8ed0, v97
	s_delay_alu instid0(VALU_DEP_1) | instskip(SKIP_1) | instid1(VALU_DEP_1)
	v_cndmask_b32_e64 v112, 0, v112, s0
	v_cmp_nlt_f32_e64 s0, 0x42b17218, v39
	v_cndmask_b32_e64 v39, 0x7f800000, v99, s0
	v_cmp_ngt_f32_e64 s0, 0xc2ce8ed0, v98
	s_delay_alu instid0(VALU_DEP_2) | instskip(NEXT) | instid1(VALU_DEP_2)
	v_fmac_f32_e32 v37, v22, v39
	v_cndmask_b32_e64 v51, 0, v113, s0
	v_cmp_nlt_f32_e64 s0, 0x42b17218, v84
	v_mul_f32_e32 v22, v114, v53
	s_waitcnt lgkmcnt(3)
	v_fma_f32 v52, v68, v37, 0
	s_delay_alu instid0(VALU_DEP_3) | instskip(SKIP_1) | instid1(VALU_DEP_2)
	v_cndmask_b32_e64 v84, 0x7f800000, v100, s0
	v_cmp_nlt_f32_e64 s0, 0x42b17218, v85
	v_fmac_f32_e32 v38, v36, v84
	s_delay_alu instid0(VALU_DEP_2) | instskip(SKIP_2) | instid1(VALU_DEP_4)
	v_cndmask_b32_e64 v39, 0x7f800000, v101, s0
	v_cmp_nlt_f32_e64 s0, 0x42b17218, v86
	v_mul_f32_e32 v36, v114, v54
	v_fmac_f32_e32 v52, v69, v38
	s_delay_alu instid0(VALU_DEP_4) | instskip(NEXT) | instid1(VALU_DEP_4)
	v_fmac_f32_e32 v22, v23, v39
	v_cndmask_b32_e64 v53, 0x7f800000, v102, s0
	v_cmp_nlt_f32_e64 s0, 0x42b17218, v87
	v_mul_f32_e32 v23, v114, v56
	s_delay_alu instid0(VALU_DEP_4) | instskip(NEXT) | instid1(VALU_DEP_4)
	v_fmac_f32_e32 v52, v70, v22
	v_fmac_f32_e32 v36, v24, v53
	s_delay_alu instid0(VALU_DEP_4) | instskip(SKIP_2) | instid1(VALU_DEP_3)
	v_cndmask_b32_e64 v39, 0x7f800000, v103, s0
	v_cmp_nlt_f32_e64 s0, 0x42b17218, v88
	v_mul_f32_e32 v24, v114, v57
	v_dual_fmac_f32 v52, v71, v36 :: v_dual_fmac_f32 v23, v25, v39
	s_delay_alu instid0(VALU_DEP_3) | instskip(SKIP_2) | instid1(VALU_DEP_3)
	v_cndmask_b32_e64 v53, 0x7f800000, v104, s0
	v_cmp_nlt_f32_e64 s0, 0x42b17218, v89
	s_waitcnt lgkmcnt(2)
	v_dual_mul_f32 v25, v114, v58 :: v_dual_fmac_f32 v52, v72, v23
	s_delay_alu instid0(VALU_DEP_3) | instskip(NEXT) | instid1(VALU_DEP_3)
	v_fmac_f32_e32 v24, v26, v53
	v_cndmask_b32_e64 v39, 0x7f800000, v105, s0
	v_cmp_nlt_f32_e64 s0, 0x42b17218, v90
	v_mul_f32_e32 v26, v114, v59
	s_delay_alu instid0(VALU_DEP_3) | instskip(NEXT) | instid1(VALU_DEP_3)
	v_dual_fmac_f32 v52, v73, v24 :: v_dual_fmac_f32 v25, v27, v39
	v_cndmask_b32_e64 v53, 0x7f800000, v106, s0
	v_cmp_nlt_f32_e64 s0, 0x42b17218, v91
	v_mul_f32_e32 v27, v114, v60
	s_delay_alu instid0(VALU_DEP_4) | instskip(NEXT) | instid1(VALU_DEP_4)
	v_fmac_f32_e32 v52, v74, v25
	v_fmac_f32_e32 v26, v28, v53
	s_delay_alu instid0(VALU_DEP_4) | instskip(SKIP_2) | instid1(VALU_DEP_3)
	v_cndmask_b32_e64 v39, 0x7f800000, v107, s0
	v_cmp_nlt_f32_e64 s0, 0x42b17218, v92
	v_mul_f32_e32 v28, v114, v61
	v_dual_fmac_f32 v52, v75, v26 :: v_dual_fmac_f32 v27, v29, v39
	s_delay_alu instid0(VALU_DEP_3) | instskip(SKIP_2) | instid1(VALU_DEP_3)
	v_cndmask_b32_e64 v53, 0x7f800000, v108, s0
	v_cmp_nlt_f32_e64 s0, 0x42b17218, v93
	s_waitcnt lgkmcnt(1)
	v_dual_mul_f32 v29, v114, v62 :: v_dual_fmac_f32 v52, v76, v27
	s_delay_alu instid0(VALU_DEP_3) | instskip(NEXT) | instid1(VALU_DEP_3)
	v_fmac_f32_e32 v28, v30, v53
	v_cndmask_b32_e64 v39, 0x7f800000, v109, s0
	v_cmp_nlt_f32_e64 s0, 0x42b17218, v94
	v_mul_f32_e32 v30, v114, v63
	s_delay_alu instid0(VALU_DEP_3) | instskip(SKIP_1) | instid1(VALU_DEP_4)
	v_dual_fmac_f32 v52, v77, v28 :: v_dual_fmac_f32 v29, v31, v39
	v_mul_f32_e32 v31, v114, v64
	v_cndmask_b32_e64 v53, 0x7f800000, v110, s0
	v_cmp_nlt_f32_e64 s0, 0x42b17218, v95
	s_delay_alu instid0(VALU_DEP_4) | instskip(NEXT) | instid1(VALU_DEP_3)
	v_fmac_f32_e32 v52, v78, v29
	v_fmac_f32_e32 v30, v32, v53
	s_delay_alu instid0(VALU_DEP_3) | instskip(SKIP_2) | instid1(VALU_DEP_3)
	v_cndmask_b32_e64 v39, 0x7f800000, v111, s0
	v_cmp_nlt_f32_e64 s0, 0x42b17218, v96
	v_mul_f32_e32 v32, v114, v65
	v_dual_fmac_f32 v52, v79, v30 :: v_dual_fmac_f32 v31, v33, v39
	s_delay_alu instid0(VALU_DEP_3)
	v_cndmask_b32_e64 v40, 0x7f800000, v40, s0
	v_cmp_nlt_f32_e64 s0, 0x42b17218, v97
	v_mul_f32_e32 v33, v114, v66
	v_mul_f32_e32 v39, v114, v67
	s_waitcnt lgkmcnt(0)
	v_fmac_f32_e32 v52, v80, v31
	v_fmac_f32_e32 v32, v34, v40
	v_cndmask_b32_e64 v53, 0x7f800000, v112, s0
	v_cmp_nlt_f32_e64 s0, 0x42b17218, v98
	s_delay_alu instid0(VALU_DEP_2) | instskip(NEXT) | instid1(VALU_DEP_2)
	v_dual_fmac_f32 v52, v81, v32 :: v_dual_fmac_f32 v33, v35, v53
	v_cndmask_b32_e64 v34, 0x7f800000, v51, s0
	s_ashr_i64 s[0:1], s[18:19], 28
	s_delay_alu instid0(VALU_DEP_1) | instskip(SKIP_1) | instid1(VALU_DEP_1)
	v_dual_fmac_f32 v52, v82, v33 :: v_dual_fmac_f32 v39, v21, v34
	v_add_co_u32 v34, s0, v47, s0
	v_add_co_ci_u32_e64 v35, s0, s1, v48, s0
	s_delay_alu instid0(VALU_DEP_3)
	v_fmac_f32_e32 v52, v83, v39
	global_store_b32 v[34:35], v52, off
	s_waitcnt_vscnt null, 0x0
	s_barrier
	buffer_gl0_inv
	s_and_saveexec_b32 s0, vcc_lo
	s_cbranch_execz .LBB8_22
; %bb.21:
	v_mad_i64_i32 v[34:35], null, s2, 20, v[43:44]
	v_mad_i64_i32 v[51:52], null, s10, 20, v[45:46]
	global_load_b32 v21, v[34:35], off
	global_load_b32 v34, v[51:52], off
	s_waitcnt vmcnt(1)
	ds_store_b32 v55, v21
	s_waitcnt vmcnt(0)
	ds_store_b32 v0, v34
.LBB8_22:
	s_or_b32 exec_lo, exec_lo, s0
	v_add_co_u32 v17, s0, v17, s8
	s_delay_alu instid0(VALU_DEP_1)
	v_add_co_ci_u32_e64 v18, s0, s9, v18, s0
	s_waitcnt lgkmcnt(0)
	s_barrier
	buffer_gl0_inv
	global_load_b32 v21, v[17:18], off
	s_mov_b32 s3, exec_lo
	s_waitcnt vmcnt(0)
	v_cmpx_ge_f32_e32 0x41a00000, v21
	s_cbranch_execz .LBB8_24
; %bb.23:
	v_mul_f32_e32 v34, 0x3fb8aa3b, v21
	v_cmp_ngt_f32_e64 s0, 0xc2ce8ed0, v21
	s_delay_alu instid0(VALU_DEP_2) | instskip(SKIP_1) | instid1(VALU_DEP_2)
	v_rndne_f32_e32 v35, v34
	v_fma_f32 v40, 0x3fb8aa3b, v21, -v34
	v_sub_f32_e32 v34, v34, v35
	s_delay_alu instid0(VALU_DEP_2) | instskip(SKIP_1) | instid1(VALU_DEP_2)
	v_fmamk_f32 v40, v21, 0x32a5705f, v40
	v_cvt_i32_f32_e32 v35, v35
	v_add_f32_e32 v34, v34, v40
	s_delay_alu instid0(VALU_DEP_1) | instskip(SKIP_2) | instid1(VALU_DEP_1)
	v_exp_f32_e32 v34, v34
	s_waitcnt_depctr 0xfff
	v_ldexp_f32 v34, v34, v35
	v_cndmask_b32_e64 v34, 0, v34, s0
	v_cmp_nlt_f32_e64 s0, 0x42b17218, v21
	s_delay_alu instid0(VALU_DEP_1) | instskip(NEXT) | instid1(VALU_DEP_1)
	v_cndmask_b32_e64 v21, 0x7f800000, v34, s0
	v_add_f32_e32 v40, 1.0, v21
	v_cmp_gt_f32_e64 s1, 0x33800000, v21
	s_delay_alu instid0(VALU_DEP_2) | instskip(NEXT) | instid1(VALU_DEP_1)
	v_cvt_f64_f32_e32 v[34:35], v40
	v_frexp_exp_i32_f64_e32 v34, v[34:35]
	v_frexp_mant_f32_e32 v35, v40
	s_delay_alu instid0(VALU_DEP_1) | instskip(SKIP_1) | instid1(VALU_DEP_1)
	v_cmp_gt_f32_e64 s0, 0x3f2aaaab, v35
	v_add_f32_e32 v35, -1.0, v40
	v_dual_sub_f32 v52, v35, v40 :: v_dual_sub_f32 v35, v21, v35
	s_delay_alu instid0(VALU_DEP_1) | instskip(NEXT) | instid1(VALU_DEP_1)
	v_add_f32_e32 v52, 1.0, v52
	v_add_f32_e32 v35, v35, v52
	v_subrev_co_ci_u32_e64 v34, s0, 0, v34, s0
	s_mov_b32 s0, 0x3e9b6dac
	s_delay_alu instid0(VALU_DEP_1) | instskip(SKIP_1) | instid1(VALU_DEP_2)
	v_sub_nc_u32_e32 v51, 0, v34
	v_cvt_f32_i32_e32 v34, v34
	v_ldexp_f32 v40, v40, v51
	v_ldexp_f32 v35, v35, v51
	s_delay_alu instid0(VALU_DEP_2) | instskip(NEXT) | instid1(VALU_DEP_1)
	v_add_f32_e32 v53, 1.0, v40
	v_dual_add_f32 v51, -1.0, v40 :: v_dual_add_f32 v52, -1.0, v53
	s_delay_alu instid0(VALU_DEP_1) | instskip(NEXT) | instid1(VALU_DEP_2)
	v_add_f32_e32 v54, 1.0, v51
	v_sub_f32_e32 v52, v40, v52
	s_delay_alu instid0(VALU_DEP_2) | instskip(NEXT) | instid1(VALU_DEP_2)
	v_sub_f32_e32 v40, v40, v54
	v_add_f32_e32 v52, v35, v52
	s_delay_alu instid0(VALU_DEP_2) | instskip(NEXT) | instid1(VALU_DEP_2)
	v_add_f32_e32 v35, v35, v40
	v_add_f32_e32 v54, v53, v52
	s_delay_alu instid0(VALU_DEP_2) | instskip(NEXT) | instid1(VALU_DEP_2)
	v_add_f32_e32 v56, v51, v35
	v_rcp_f32_e32 v40, v54
	v_sub_f32_e32 v53, v53, v54
	s_delay_alu instid0(VALU_DEP_2) | instskip(NEXT) | instid1(VALU_DEP_1)
	v_sub_f32_e32 v51, v51, v56
	v_dual_add_f32 v35, v35, v51 :: v_dual_add_f32 v52, v52, v53
	s_waitcnt_depctr 0xfff
	v_mul_f32_e32 v57, v56, v40
	s_delay_alu instid0(VALU_DEP_1) | instskip(NEXT) | instid1(VALU_DEP_1)
	v_mul_f32_e32 v58, v54, v57
	v_fma_f32 v53, v57, v54, -v58
	s_delay_alu instid0(VALU_DEP_1) | instskip(NEXT) | instid1(VALU_DEP_1)
	v_fmac_f32_e32 v53, v57, v52
	v_add_f32_e32 v59, v58, v53
	s_delay_alu instid0(VALU_DEP_1) | instskip(NEXT) | instid1(VALU_DEP_1)
	v_dual_sub_f32 v60, v56, v59 :: v_dual_sub_f32 v51, v59, v58
	v_dual_sub_f32 v51, v51, v53 :: v_dual_sub_f32 v56, v56, v60
	s_delay_alu instid0(VALU_DEP_1) | instskip(NEXT) | instid1(VALU_DEP_1)
	v_sub_f32_e32 v56, v56, v59
	v_add_f32_e32 v35, v35, v56
	s_delay_alu instid0(VALU_DEP_1) | instskip(NEXT) | instid1(VALU_DEP_1)
	v_add_f32_e32 v35, v51, v35
	v_add_f32_e32 v51, v60, v35
	s_delay_alu instid0(VALU_DEP_1) | instskip(NEXT) | instid1(VALU_DEP_1)
	v_mul_f32_e32 v53, v40, v51
	v_dual_sub_f32 v59, v60, v51 :: v_dual_mul_f32 v56, v54, v53
	s_delay_alu instid0(VALU_DEP_1) | instskip(NEXT) | instid1(VALU_DEP_2)
	v_add_f32_e32 v35, v35, v59
	v_fma_f32 v54, v53, v54, -v56
	s_delay_alu instid0(VALU_DEP_1) | instskip(NEXT) | instid1(VALU_DEP_1)
	v_fmac_f32_e32 v54, v53, v52
	v_add_f32_e32 v52, v56, v54
	s_delay_alu instid0(VALU_DEP_1) | instskip(NEXT) | instid1(VALU_DEP_1)
	v_sub_f32_e32 v58, v51, v52
	v_sub_f32_e32 v51, v51, v58
	s_delay_alu instid0(VALU_DEP_1) | instskip(NEXT) | instid1(VALU_DEP_1)
	v_sub_f32_e32 v51, v51, v52
	v_dual_sub_f32 v56, v52, v56 :: v_dual_add_f32 v35, v35, v51
	s_delay_alu instid0(VALU_DEP_1) | instskip(NEXT) | instid1(VALU_DEP_1)
	v_dual_sub_f32 v52, v56, v54 :: v_dual_add_f32 v51, v57, v53
	v_dual_add_f32 v35, v52, v35 :: v_dual_sub_f32 v52, v51, v57
	s_delay_alu instid0(VALU_DEP_1) | instskip(NEXT) | instid1(VALU_DEP_1)
	v_dual_add_f32 v35, v58, v35 :: v_dual_sub_f32 v52, v53, v52
	v_mul_f32_e32 v35, v40, v35
	s_delay_alu instid0(VALU_DEP_1) | instskip(NEXT) | instid1(VALU_DEP_1)
	v_add_f32_e32 v35, v52, v35
	v_add_f32_e32 v40, v51, v35
	s_delay_alu instid0(VALU_DEP_1) | instskip(NEXT) | instid1(VALU_DEP_1)
	v_mul_f32_e32 v52, v40, v40
	v_fmaak_f32 v53, s0, v52, 0x3ecc95a3
	v_mul_f32_e32 v54, v40, v52
	v_cmp_eq_f32_e64 s0, 0x7f800000, v21
	s_delay_alu instid0(VALU_DEP_3) | instskip(SKIP_1) | instid1(VALU_DEP_3)
	v_fmaak_f32 v52, v52, v53, 0x3f2aaada
	v_ldexp_f32 v53, v40, 1
	s_or_b32 s0, s1, s0
	s_delay_alu instid0(VALU_DEP_2) | instskip(NEXT) | instid1(VALU_DEP_1)
	v_mul_f32_e32 v52, v54, v52
	v_dual_sub_f32 v40, v40, v51 :: v_dual_add_f32 v51, v53, v52
	s_delay_alu instid0(VALU_DEP_1) | instskip(NEXT) | instid1(VALU_DEP_2)
	v_sub_f32_e32 v35, v35, v40
	v_sub_f32_e32 v40, v51, v53
	s_delay_alu instid0(VALU_DEP_2) | instskip(NEXT) | instid1(VALU_DEP_2)
	v_ldexp_f32 v35, v35, 1
	v_sub_f32_e32 v40, v52, v40
	s_delay_alu instid0(VALU_DEP_1) | instskip(NEXT) | instid1(VALU_DEP_1)
	v_dual_mul_f32 v54, 0x3f317218, v34 :: v_dual_add_f32 v35, v35, v40
	v_fma_f32 v53, 0x3f317218, v34, -v54
	s_delay_alu instid0(VALU_DEP_2) | instskip(NEXT) | instid1(VALU_DEP_1)
	v_add_f32_e32 v52, v51, v35
	v_dual_fmamk_f32 v34, v34, 0xb102e308, v53 :: v_dual_sub_f32 v51, v52, v51
	s_delay_alu instid0(VALU_DEP_1) | instskip(NEXT) | instid1(VALU_DEP_1)
	v_dual_add_f32 v40, v54, v34 :: v_dual_sub_f32 v35, v35, v51
	v_add_f32_e32 v53, v40, v52
	s_delay_alu instid0(VALU_DEP_1) | instskip(NEXT) | instid1(VALU_DEP_1)
	v_sub_f32_e32 v56, v53, v40
	v_dual_sub_f32 v57, v53, v56 :: v_dual_sub_f32 v54, v40, v54
	v_sub_f32_e32 v51, v52, v56
	s_delay_alu instid0(VALU_DEP_2) | instskip(NEXT) | instid1(VALU_DEP_3)
	v_sub_f32_e32 v40, v40, v57
	v_sub_f32_e32 v34, v34, v54
	s_delay_alu instid0(VALU_DEP_2) | instskip(NEXT) | instid1(VALU_DEP_2)
	v_add_f32_e32 v40, v51, v40
	v_add_f32_e32 v52, v34, v35
	s_delay_alu instid0(VALU_DEP_1) | instskip(NEXT) | instid1(VALU_DEP_3)
	v_sub_f32_e32 v51, v52, v34
	v_add_f32_e32 v40, v52, v40
	s_delay_alu instid0(VALU_DEP_2) | instskip(NEXT) | instid1(VALU_DEP_2)
	v_sub_f32_e32 v52, v52, v51
	v_dual_add_f32 v54, v53, v40 :: v_dual_sub_f32 v35, v35, v51
	s_delay_alu instid0(VALU_DEP_2) | instskip(NEXT) | instid1(VALU_DEP_1)
	v_sub_f32_e32 v34, v34, v52
	v_dual_sub_f32 v51, v54, v53 :: v_dual_add_f32 v34, v35, v34
	s_delay_alu instid0(VALU_DEP_1) | instskip(NEXT) | instid1(VALU_DEP_1)
	v_sub_f32_e32 v35, v40, v51
	v_add_f32_e32 v34, v34, v35
	s_delay_alu instid0(VALU_DEP_1) | instskip(NEXT) | instid1(VALU_DEP_1)
	v_add_f32_e32 v34, v54, v34
	v_cndmask_b32_e64 v21, v34, v21, s0
.LBB8_24:
	s_or_b32 exec_lo, exec_lo, s3
	v_add_co_u32 v19, s0, v19, s16
	s_delay_alu instid0(VALU_DEP_1) | instskip(NEXT) | instid1(VALU_DEP_3)
	v_add_co_ci_u32_e64 v20, s0, s17, v20, s0
	v_dual_mov_b32 v34, 0 :: v_dual_mul_f32 v35, v21, v14
	v_mul_f32_e32 v85, v21, v16
	global_load_b32 v19, v[19:20], off
	ds_load_b128 v[51:54], v34
	ds_load_b128 v[56:59], v34 offset:16
	ds_load_b128 v[60:63], v34 offset:32
	;; [unrolled: 1-line block ×3, first 2 shown]
	v_dual_mul_f32 v98, 0x3fb8aa3b, v35 :: v_dual_mul_f32 v89, v21, v12
	v_dual_mul_f32 v100, 0x3fb8aa3b, v85 :: v_dual_mul_f32 v93, v21, v8
	ds_load_b128 v[68:71], v34 offset:64
	ds_load_b128 v[72:75], v34 offset:80
	;; [unrolled: 1-line block ×4, first 2 shown]
	v_dual_mul_f32 v104, 0x3fb8aa3b, v89 :: v_dual_mul_f32 v97, v21, v4
	v_mul_f32_e32 v108, 0x3fb8aa3b, v93
	v_mul_f32_e32 v96, v21, v3
	v_fma_f32 v114, 0x3fb8aa3b, v35, -v98
	v_rndne_f32_e32 v115, v98
	v_mul_f32_e32 v111, 0x3fb8aa3b, v97
	v_fma_f32 v118, 0x3fb8aa3b, v85, -v100
	v_rndne_f32_e32 v119, v100
	v_fma_f32 v126, 0x3fb8aa3b, v89, -v104
	v_rndne_f32_e32 v127, v104
	v_rndne_f32_e32 v143, v111
	v_mul_f32_e32 v94, v21, v1
	v_fma_f32 v142, 0x3fb8aa3b, v97, -v111
	v_fmac_f32_e32 v126, 0x32a5705f, v89
	v_fma_f32 v134, 0x3fb8aa3b, v93, -v108
	v_sub_f32_e32 v111, v111, v143
	v_dual_mul_f32 v92, v21, v7 :: v_dual_mul_f32 v109, 0x3fb8aa3b, v94
	v_mul_f32_e32 v90, v21, v5
	v_fmac_f32_e32 v142, 0x32a5705f, v97
	v_rndne_f32_e32 v135, v108
	s_delay_alu instid0(VALU_DEP_4) | instskip(NEXT) | instid1(VALU_DEP_4)
	v_dual_mul_f32 v107, 0x3fb8aa3b, v92 :: v_dual_mul_f32 v88, v21, v11
	v_dual_mul_f32 v105, 0x3fb8aa3b, v90 :: v_dual_mul_f32 v86, v21, v9
	v_rndne_f32_e32 v137, v109
	v_fma_f32 v136, 0x3fb8aa3b, v94, -v109
	s_delay_alu instid0(VALU_DEP_4) | instskip(NEXT) | instid1(VALU_DEP_4)
	v_dual_mul_f32 v103, 0x3fb8aa3b, v88 :: v_dual_mul_f32 v84, v21, v15
	v_dual_mul_f32 v101, 0x3fb8aa3b, v86 :: v_dual_mul_f32 v20, v21, v13
	v_fma_f32 v128, 0x3fb8aa3b, v90, -v105
	s_delay_alu instid0(VALU_DEP_3) | instskip(NEXT) | instid1(VALU_DEP_4)
	v_rndne_f32_e32 v125, v103
	v_mul_f32_e32 v99, 0x3fb8aa3b, v84
	s_delay_alu instid0(VALU_DEP_4) | instskip(SKIP_2) | instid1(VALU_DEP_4)
	v_dual_mul_f32 v87, v21, v10 :: v_dual_mul_f32 v40, 0x3fb8aa3b, v20
	v_mul_f32_e32 v91, v21, v6
	v_sub_f32_e32 v109, v109, v137
	v_fma_f32 v116, 0x3fb8aa3b, v84, -v99
	s_delay_alu instid0(VALU_DEP_4) | instskip(NEXT) | instid1(VALU_DEP_4)
	v_dual_mul_f32 v102, 0x3fb8aa3b, v87 :: v_dual_mul_f32 v95, v21, v2
	v_mul_f32_e32 v106, 0x3fb8aa3b, v91
	v_fma_f32 v112, 0x3fb8aa3b, v20, -v40
	v_rndne_f32_e32 v113, v40
	v_rndne_f32_e32 v117, v99
	v_mul_f32_e32 v34, 0x3fb8aa3b, v95
	v_fmac_f32_e32 v116, 0x32a5705f, v84
	v_fmac_f32_e32 v112, 0x32a5705f, v20
	v_fma_f32 v124, 0x3fb8aa3b, v88, -v103
	v_sub_f32_e32 v103, v103, v125
	v_sub_f32_e32 v99, v99, v117
	;; [unrolled: 1-line block ×3, first 2 shown]
	v_rndne_f32_e32 v129, v105
	v_rndne_f32_e32 v133, v107
	v_fmac_f32_e32 v114, 0x32a5705f, v35
	v_dual_sub_f32 v98, v98, v115 :: v_dual_add_f32 v99, v99, v116
	v_add_f32_e32 v40, v40, v112
	v_fma_f32 v120, 0x3fb8aa3b, v86, -v101
	v_rndne_f32_e32 v121, v101
	v_fma_f32 v132, 0x3fb8aa3b, v92, -v107
	v_dual_fmac_f32 v128, 0x32a5705f, v90 :: v_dual_sub_f32 v105, v105, v129
	v_dual_sub_f32 v107, v107, v133 :: v_dual_add_f32 v98, v98, v114
	v_exp_f32_e32 v40, v40
	v_dual_mul_f32 v110, 0x3fb8aa3b, v96 :: v_dual_sub_f32 v101, v101, v121
	v_cvt_i32_f32_e32 v113, v113
	v_dual_fmac_f32 v120, 0x32a5705f, v86 :: v_dual_add_f32 v105, v105, v128
	v_fmac_f32_e32 v118, 0x32a5705f, v85
	v_dual_fmac_f32 v124, 0x32a5705f, v88 :: v_dual_add_f32 v111, v111, v142
	v_sub_f32_e32 v100, v100, v119
	v_exp_f32_e32 v98, v98
	v_fma_f32 v122, 0x3fb8aa3b, v87, -v102
	s_delay_alu instid0(VALU_DEP_3)
	v_add_f32_e32 v103, v103, v124
	v_rndne_f32_e32 v123, v102
	v_cvt_i32_f32_e32 v115, v115
	v_add_f32_e32 v101, v101, v120
	v_exp_f32_e32 v99, v99
	v_ldexp_f32 v40, v40, v113
	v_cmp_ngt_f32_e64 s0, 0xc2ce8ed0, v20
	v_cvt_i32_f32_e32 v117, v117
	v_fmac_f32_e32 v132, 0x32a5705f, v92
	v_fmac_f32_e32 v122, 0x32a5705f, v87
	;; [unrolled: 1-line block ×3, first 2 shown]
	v_sub_f32_e32 v102, v102, v123
	v_ldexp_f32 v98, v98, v115
	v_cndmask_b32_e64 v40, 0, v40, s0
	v_cmp_ngt_f32_e64 s0, 0xc2ce8ed0, v35
	v_add_f32_e32 v109, v109, v136
	v_cvt_i32_f32_e32 v119, v119
	v_dual_add_f32 v107, v107, v132 :: v_dual_add_f32 v102, v102, v122
	v_exp_f32_e32 v101, v101
	v_ldexp_f32 v99, v99, v117
	v_cndmask_b32_e64 v98, 0, v98, s0
	v_cmp_ngt_f32_e64 s0, 0xc2ce8ed0, v84
	v_cvt_i32_f32_e32 v121, v121
	v_exp_f32_e32 v102, v102
	v_fma_f32 v130, 0x3fb8aa3b, v91, -v106
	v_rndne_f32_e32 v131, v106
	v_cndmask_b32_e64 v99, 0, v99, s0
	v_cmp_ngt_f32_e64 s0, 0xc2ce8ed0, v85
	v_cvt_i32_f32_e32 v123, v123
	v_exp_f32_e32 v103, v103
	v_ldexp_f32 v101, v101, v121
	v_cvt_i32_f32_e32 v125, v125
	v_fmac_f32_e32 v130, 0x32a5705f, v91
	v_ldexp_f32 v102, v102, v123
	v_exp_f32_e32 v105, v105
	v_cvt_i32_f32_e32 v129, v129
	v_fmac_f32_e32 v134, 0x32a5705f, v93
	v_fma_f32 v138, 0x3fb8aa3b, v95, -v34
	v_rndne_f32_e32 v139, v34
	v_ldexp_f32 v103, v103, v125
	v_exp_f32_e32 v107, v107
	v_fma_f32 v140, 0x3fb8aa3b, v96, -v110
	v_rndne_f32_e32 v141, v110
	v_cvt_i32_f32_e32 v133, v133
	v_ldexp_f32 v105, v105, v129
	v_fmac_f32_e32 v138, 0x32a5705f, v95
	v_sub_f32_e32 v34, v34, v139
	v_fmac_f32_e32 v140, 0x32a5705f, v96
	v_exp_f32_e32 v109, v109
	v_cvt_i32_f32_e32 v137, v137
	v_ldexp_f32 v107, v107, v133
	v_add_f32_e32 v34, v34, v138
	v_cvt_i32_f32_e32 v139, v139
	v_exp_f32_e32 v111, v111
	v_cvt_i32_f32_e32 v143, v143
	s_delay_alu instid0(VALU_DEP_3) | instskip(NEXT) | instid1(TRANS32_DEP_3)
	v_exp_f32_e32 v34, v34
	v_ldexp_f32 v109, v109, v137
	s_waitcnt_depctr 0xfff
	v_ldexp_f32 v111, v111, v143
	v_ldexp_f32 v34, v34, v139
	s_waitcnt vmcnt(0)
	v_dual_mul_f32 v19, v21, v19 :: v_dual_add_f32 v100, v100, v118
	v_sub_f32_e32 v104, v104, v127
	v_sub_f32_e32 v106, v106, v131
	v_cvt_i32_f32_e32 v127, v127
	v_sub_f32_e32 v108, v108, v135
	v_exp_f32_e32 v100, v100
	v_add_f32_e32 v104, v104, v126
	v_add_f32_e32 v106, v106, v130
	v_cvt_i32_f32_e32 v131, v131
	v_add_f32_e32 v108, v108, v134
	v_cvt_i32_f32_e32 v135, v135
	v_exp_f32_e32 v104, v104
	v_exp_f32_e32 v106, v106
	v_sub_f32_e32 v110, v110, v141
	v_exp_f32_e32 v108, v108
	v_ldexp_f32 v100, v100, v119
	v_cvt_i32_f32_e32 v141, v141
	s_delay_alu instid0(VALU_DEP_3) | instskip(NEXT) | instid1(VALU_DEP_3)
	v_add_f32_e32 v110, v110, v140
	v_cndmask_b32_e64 v100, 0, v100, s0
	v_cmp_ngt_f32_e64 s0, 0xc2ce8ed0, v86
	s_delay_alu instid0(TRANS32_DEP_3) | instskip(NEXT) | instid1(TRANS32_DEP_2)
	v_ldexp_f32 v104, v104, v127
	v_ldexp_f32 v106, v106, v131
	s_delay_alu instid0(TRANS32_DEP_1) | instskip(SKIP_3) | instid1(VALU_DEP_1)
	v_ldexp_f32 v108, v108, v135
	v_exp_f32_e32 v110, v110
	v_cndmask_b32_e64 v101, 0, v101, s0
	v_cmp_ngt_f32_e64 s0, 0xc2ce8ed0, v87
	v_cndmask_b32_e64 v102, 0, v102, s0
	v_cmp_ngt_f32_e64 s0, 0xc2ce8ed0, v88
	s_waitcnt_depctr 0xfff
	v_ldexp_f32 v110, v110, v141
	v_cndmask_b32_e64 v103, 0, v103, s0
	v_cmp_ngt_f32_e64 s0, 0xc2ce8ed0, v89
	s_delay_alu instid0(VALU_DEP_1) | instskip(SKIP_1) | instid1(VALU_DEP_1)
	v_cndmask_b32_e64 v104, 0, v104, s0
	v_cmp_ngt_f32_e64 s0, 0xc2ce8ed0, v90
	v_cndmask_b32_e64 v105, 0, v105, s0
	v_cmp_ngt_f32_e64 s0, 0xc2ce8ed0, v91
	s_delay_alu instid0(VALU_DEP_1) | instskip(SKIP_1) | instid1(VALU_DEP_1)
	v_cndmask_b32_e64 v106, 0, v106, s0
	v_cmp_ngt_f32_e64 s0, 0xc2ce8ed0, v92
	;; [unrolled: 5-line block ×4, first 2 shown]
	v_cndmask_b32_e64 v110, 0, v110, s0
	v_cmp_nlt_f32_e64 s0, 0x42b17218, v20
	s_waitcnt lgkmcnt(7)
	v_mul_f32_e32 v20, v19, v51
	s_delay_alu instid0(VALU_DEP_2) | instskip(SKIP_2) | instid1(VALU_DEP_3)
	v_cndmask_b32_e64 v21, 0x7f800000, v40, s0
	v_cmp_ngt_f32_e64 s0, 0xc2ce8ed0, v97
	v_mul_f32_e32 v40, v19, v52
	v_fmac_f32_e32 v20, v37, v21
	s_delay_alu instid0(VALU_DEP_3) | instskip(SKIP_2) | instid1(VALU_DEP_2)
	v_cndmask_b32_e64 v51, 0, v111, s0
	v_cmp_nlt_f32_e64 s0, 0x42b17218, v35
	v_mul_f32_e32 v21, v19, v53
	v_cndmask_b32_e64 v34, 0x7f800000, v98, s0
	v_cmp_nlt_f32_e64 s0, 0x42b17218, v84
	s_delay_alu instid0(VALU_DEP_2) | instskip(NEXT) | instid1(VALU_DEP_2)
	v_fmac_f32_e32 v40, v38, v34
	v_cndmask_b32_e64 v35, 0x7f800000, v99, s0
	v_cmp_nlt_f32_e64 s0, 0x42b17218, v85
	s_delay_alu instid0(VALU_DEP_2) | instskip(NEXT) | instid1(VALU_DEP_2)
	v_dual_mul_f32 v34, v19, v54 :: v_dual_fmac_f32 v21, v22, v35
	v_cndmask_b32_e64 v38, 0x7f800000, v100, s0
	v_cmp_nlt_f32_e64 s0, 0x42b17218, v86
	s_waitcnt lgkmcnt(6)
	v_mul_f32_e32 v22, v19, v56
	s_delay_alu instid0(VALU_DEP_3) | instskip(NEXT) | instid1(VALU_DEP_3)
	v_dual_mul_f32 v35, v19, v57 :: v_dual_fmac_f32 v34, v36, v38
	v_cndmask_b32_e64 v52, 0x7f800000, v101, s0
	v_cmp_nlt_f32_e64 s0, 0x42b17218, v87
	s_delay_alu instid0(VALU_DEP_2) | instskip(NEXT) | instid1(VALU_DEP_2)
	v_fmac_f32_e32 v22, v23, v52
	v_cndmask_b32_e64 v36, 0x7f800000, v102, s0
	v_cmp_nlt_f32_e64 s0, 0x42b17218, v88
	v_mul_f32_e32 v23, v19, v58
	s_delay_alu instid0(VALU_DEP_3) | instskip(NEXT) | instid1(VALU_DEP_3)
	v_fmac_f32_e32 v35, v24, v36
	v_cndmask_b32_e64 v38, 0x7f800000, v103, s0
	v_cmp_nlt_f32_e64 s0, 0x42b17218, v89
	s_delay_alu instid0(VALU_DEP_2) | instskip(NEXT) | instid1(VALU_DEP_2)
	v_dual_mul_f32 v24, v19, v59 :: v_dual_fmac_f32 v23, v25, v38
	v_cndmask_b32_e64 v36, 0x7f800000, v104, s0
	v_cmp_nlt_f32_e64 s0, 0x42b17218, v90
	s_waitcnt lgkmcnt(5)
	v_mul_f32_e32 v25, v19, v60
	s_delay_alu instid0(VALU_DEP_3) | instskip(NEXT) | instid1(VALU_DEP_3)
	v_fmac_f32_e32 v24, v26, v36
	v_cndmask_b32_e64 v38, 0x7f800000, v105, s0
	v_cmp_nlt_f32_e64 s0, 0x42b17218, v91
	v_mul_f32_e32 v26, v19, v61
	s_delay_alu instid0(VALU_DEP_3) | instskip(NEXT) | instid1(VALU_DEP_3)
	v_fmac_f32_e32 v25, v27, v38
	v_cndmask_b32_e64 v36, 0x7f800000, v106, s0
	v_cmp_nlt_f32_e64 s0, 0x42b17218, v92
	s_delay_alu instid0(VALU_DEP_2) | instskip(NEXT) | instid1(VALU_DEP_2)
	v_dual_mul_f32 v27, v19, v62 :: v_dual_fmac_f32 v26, v28, v36
	v_cndmask_b32_e64 v38, 0x7f800000, v107, s0
	v_cmp_nlt_f32_e64 s0, 0x42b17218, v93
	s_delay_alu instid0(VALU_DEP_2) | instskip(NEXT) | instid1(VALU_DEP_2)
	v_dual_mul_f32 v28, v19, v63 :: v_dual_fmac_f32 v27, v29, v38
	v_cndmask_b32_e64 v36, 0x7f800000, v108, s0
	v_cmp_nlt_f32_e64 s0, 0x42b17218, v94
	s_waitcnt lgkmcnt(4)
	v_mul_f32_e32 v29, v19, v64
	s_delay_alu instid0(VALU_DEP_3) | instskip(NEXT) | instid1(VALU_DEP_3)
	v_fmac_f32_e32 v28, v30, v36
	v_cndmask_b32_e64 v38, 0x7f800000, v109, s0
	v_cmp_nlt_f32_e64 s0, 0x42b17218, v95
	v_mul_f32_e32 v30, v19, v65
	s_delay_alu instid0(VALU_DEP_3) | instskip(SKIP_1) | instid1(VALU_DEP_4)
	v_fmac_f32_e32 v29, v31, v38
	v_mul_f32_e32 v31, v19, v66
	v_cndmask_b32_e64 v36, 0x7f800000, v112, s0
	v_cmp_nlt_f32_e64 s0, 0x42b17218, v96
	s_waitcnt lgkmcnt(3)
	v_fma_f32 v37, v68, v20, 0
	s_delay_alu instid0(VALU_DEP_3) | instskip(NEXT) | instid1(VALU_DEP_3)
	v_dual_mul_f32 v19, v19, v67 :: v_dual_fmac_f32 v30, v32, v36
	v_cndmask_b32_e64 v38, 0x7f800000, v110, s0
	v_cmp_nlt_f32_e64 s0, 0x42b17218, v97
	s_delay_alu instid0(VALU_DEP_2) | instskip(NEXT) | instid1(VALU_DEP_2)
	v_fmac_f32_e32 v31, v33, v38
	v_cndmask_b32_e64 v32, 0x7f800000, v51, s0
	s_delay_alu instid0(VALU_DEP_1) | instskip(SKIP_2) | instid1(VALU_DEP_2)
	v_fmac_f32_e32 v19, v39, v32
	v_fmac_f32_e32 v37, v69, v40
	v_mad_i64_i32 v[32:33], null, s12, 20, v[47:48]
	v_fmac_f32_e32 v37, v70, v21
	s_delay_alu instid0(VALU_DEP_1) | instskip(SKIP_1) | instid1(VALU_DEP_1)
	v_fmac_f32_e32 v37, v71, v34
	s_waitcnt lgkmcnt(2)
	v_fmac_f32_e32 v37, v72, v22
	s_delay_alu instid0(VALU_DEP_1) | instskip(NEXT) | instid1(VALU_DEP_1)
	v_fmac_f32_e32 v37, v73, v35
	v_fmac_f32_e32 v37, v74, v23
	s_delay_alu instid0(VALU_DEP_1) | instskip(SKIP_1) | instid1(VALU_DEP_1)
	v_fmac_f32_e32 v37, v75, v24
	s_waitcnt lgkmcnt(1)
	v_fmac_f32_e32 v37, v76, v25
	s_delay_alu instid0(VALU_DEP_1) | instskip(NEXT) | instid1(VALU_DEP_1)
	v_fmac_f32_e32 v37, v77, v26
	;; [unrolled: 7-line block ×3, first 2 shown]
	v_fmac_f32_e32 v37, v82, v31
	s_delay_alu instid0(VALU_DEP_1)
	v_fmac_f32_e32 v37, v83, v19
	global_store_b32 v[32:33], v37, off
	s_waitcnt_vscnt null, 0x0
	s_barrier
	buffer_gl0_inv
	s_and_saveexec_b32 s0, vcc_lo
	s_cbranch_execz .LBB8_26
; %bb.25:
	v_mad_i64_i32 v[32:33], null, s2, 24, v[43:44]
	v_mad_i64_i32 v[36:37], null, s10, 24, v[45:46]
	global_load_b32 v32, v[32:33], off
	global_load_b32 v33, v[36:37], off
	s_waitcnt vmcnt(1)
	ds_store_b32 v55, v32
	s_waitcnt vmcnt(0)
	ds_store_b32 v0, v33
.LBB8_26:
	s_or_b32 exec_lo, exec_lo, s0
	v_add_co_u32 v17, vcc_lo, v17, s8
	v_add_co_ci_u32_e32 v18, vcc_lo, s9, v18, vcc_lo
	s_waitcnt lgkmcnt(0)
	s_barrier
	buffer_gl0_inv
	global_load_b32 v0, v[17:18], off
	s_mov_b32 s1, exec_lo
	s_waitcnt vmcnt(0)
	v_cmpx_ge_f32_e32 0x41a00000, v0
	s_cbranch_execz .LBB8_28
; %bb.27:
	v_mul_f32_e32 v17, 0x3fb8aa3b, v0
	v_cmp_ngt_f32_e32 vcc_lo, 0xc2ce8ed0, v0
	s_mov_b32 s0, 0x3e9b6dac
	s_delay_alu instid0(VALU_DEP_2) | instskip(SKIP_1) | instid1(VALU_DEP_1)
	v_rndne_f32_e32 v18, v17
	v_fma_f32 v32, 0x3fb8aa3b, v0, -v17
	v_dual_sub_f32 v17, v17, v18 :: v_dual_fmamk_f32 v32, v0, 0x32a5705f, v32
	v_cvt_i32_f32_e32 v18, v18
	s_delay_alu instid0(VALU_DEP_2) | instskip(NEXT) | instid1(VALU_DEP_1)
	v_add_f32_e32 v17, v17, v32
	v_exp_f32_e32 v17, v17
	s_waitcnt_depctr 0xfff
	v_ldexp_f32 v17, v17, v18
	s_delay_alu instid0(VALU_DEP_1) | instskip(SKIP_1) | instid1(VALU_DEP_2)
	v_cndmask_b32_e32 v17, 0, v17, vcc_lo
	v_cmp_nlt_f32_e32 vcc_lo, 0x42b17218, v0
	v_cndmask_b32_e32 v0, 0x7f800000, v17, vcc_lo
	s_delay_alu instid0(VALU_DEP_1) | instskip(NEXT) | instid1(VALU_DEP_1)
	v_add_f32_e32 v32, 1.0, v0
	v_cvt_f64_f32_e32 v[17:18], v32
	s_delay_alu instid0(VALU_DEP_1) | instskip(SKIP_1) | instid1(VALU_DEP_1)
	v_frexp_exp_i32_f64_e32 v17, v[17:18]
	v_frexp_mant_f32_e32 v18, v32
	v_cmp_gt_f32_e32 vcc_lo, 0x3f2aaaab, v18
	v_add_f32_e32 v18, -1.0, v32
	s_delay_alu instid0(VALU_DEP_1) | instskip(NEXT) | instid1(VALU_DEP_1)
	v_sub_f32_e32 v36, v18, v32
	v_add_f32_e32 v36, 1.0, v36
	v_subrev_co_ci_u32_e32 v17, vcc_lo, 0, v17, vcc_lo
	s_delay_alu instid0(VALU_DEP_1) | instskip(SKIP_1) | instid1(VALU_DEP_2)
	v_sub_nc_u32_e32 v33, 0, v17
	v_cvt_f32_i32_e32 v17, v17
	v_ldexp_f32 v32, v32, v33
	s_delay_alu instid0(VALU_DEP_1) | instskip(SKIP_1) | instid1(VALU_DEP_2)
	v_dual_add_f32 v37, 1.0, v32 :: v_dual_sub_f32 v18, v0, v18
	v_cmp_eq_f32_e32 vcc_lo, 0x7f800000, v0
	v_add_f32_e32 v18, v18, v36
	s_delay_alu instid0(VALU_DEP_3) | instskip(NEXT) | instid1(VALU_DEP_2)
	v_add_f32_e32 v36, -1.0, v37
	v_ldexp_f32 v18, v18, v33
	v_add_f32_e32 v33, -1.0, v32
	s_delay_alu instid0(VALU_DEP_3) | instskip(NEXT) | instid1(VALU_DEP_2)
	v_sub_f32_e32 v36, v32, v36
	v_add_f32_e32 v38, 1.0, v33
	s_delay_alu instid0(VALU_DEP_2) | instskip(NEXT) | instid1(VALU_DEP_2)
	v_add_f32_e32 v36, v18, v36
	v_sub_f32_e32 v32, v32, v38
	s_delay_alu instid0(VALU_DEP_2) | instskip(NEXT) | instid1(VALU_DEP_2)
	v_add_f32_e32 v38, v37, v36
	v_add_f32_e32 v18, v18, v32
	s_delay_alu instid0(VALU_DEP_2) | instskip(SKIP_1) | instid1(VALU_DEP_1)
	v_rcp_f32_e32 v32, v38
	v_sub_f32_e32 v37, v37, v38
	v_dual_add_f32 v39, v33, v18 :: v_dual_add_f32 v36, v36, v37
	s_delay_alu instid0(VALU_DEP_1) | instskip(SKIP_2) | instid1(VALU_DEP_1)
	v_sub_f32_e32 v33, v33, v39
	s_waitcnt_depctr 0xfff
	v_dual_mul_f32 v43, v39, v32 :: v_dual_add_f32 v18, v18, v33
	v_mul_f32_e32 v44, v38, v43
	s_delay_alu instid0(VALU_DEP_1) | instskip(NEXT) | instid1(VALU_DEP_1)
	v_fma_f32 v37, v43, v38, -v44
	v_fmac_f32_e32 v37, v43, v36
	s_delay_alu instid0(VALU_DEP_1) | instskip(NEXT) | instid1(VALU_DEP_1)
	v_add_f32_e32 v45, v44, v37
	v_dual_sub_f32 v46, v39, v45 :: v_dual_sub_f32 v33, v45, v44
	s_delay_alu instid0(VALU_DEP_1) | instskip(NEXT) | instid1(VALU_DEP_2)
	v_sub_f32_e32 v39, v39, v46
	v_sub_f32_e32 v33, v33, v37
	s_delay_alu instid0(VALU_DEP_2) | instskip(NEXT) | instid1(VALU_DEP_1)
	v_sub_f32_e32 v39, v39, v45
	v_add_f32_e32 v18, v18, v39
	s_delay_alu instid0(VALU_DEP_1) | instskip(NEXT) | instid1(VALU_DEP_1)
	v_add_f32_e32 v18, v33, v18
	v_add_f32_e32 v33, v46, v18
	s_delay_alu instid0(VALU_DEP_1) | instskip(SKIP_1) | instid1(VALU_DEP_2)
	v_mul_f32_e32 v37, v32, v33
	v_sub_f32_e32 v45, v46, v33
	v_mul_f32_e32 v39, v38, v37
	s_delay_alu instid0(VALU_DEP_1) | instskip(NEXT) | instid1(VALU_DEP_1)
	v_fma_f32 v38, v37, v38, -v39
	v_fmac_f32_e32 v38, v37, v36
	s_delay_alu instid0(VALU_DEP_1) | instskip(NEXT) | instid1(VALU_DEP_1)
	v_add_f32_e32 v36, v39, v38
	v_dual_sub_f32 v44, v33, v36 :: v_dual_sub_f32 v39, v36, v39
	s_delay_alu instid0(VALU_DEP_1) | instskip(NEXT) | instid1(VALU_DEP_1)
	v_dual_sub_f32 v33, v33, v44 :: v_dual_add_f32 v18, v18, v45
	v_dual_sub_f32 v33, v33, v36 :: v_dual_sub_f32 v36, v39, v38
	s_delay_alu instid0(VALU_DEP_1) | instskip(NEXT) | instid1(VALU_DEP_1)
	v_add_f32_e32 v18, v18, v33
	v_dual_add_f32 v33, v43, v37 :: v_dual_add_f32 v18, v36, v18
	s_delay_alu instid0(VALU_DEP_1) | instskip(NEXT) | instid1(VALU_DEP_2)
	v_sub_f32_e32 v36, v33, v43
	v_add_f32_e32 v18, v44, v18
	s_delay_alu instid0(VALU_DEP_2) | instskip(NEXT) | instid1(VALU_DEP_2)
	v_sub_f32_e32 v36, v37, v36
	v_mul_f32_e32 v18, v32, v18
	s_delay_alu instid0(VALU_DEP_1) | instskip(NEXT) | instid1(VALU_DEP_1)
	v_add_f32_e32 v18, v36, v18
	v_add_f32_e32 v32, v33, v18
	s_delay_alu instid0(VALU_DEP_1) | instskip(NEXT) | instid1(VALU_DEP_1)
	v_mul_f32_e32 v36, v32, v32
	v_fmaak_f32 v37, s0, v36, 0x3ecc95a3
	v_mul_f32_e32 v38, v32, v36
	v_cmp_gt_f32_e64 s0, 0x33800000, v0
	s_delay_alu instid0(VALU_DEP_3) | instskip(SKIP_2) | instid1(VALU_DEP_4)
	v_fmaak_f32 v36, v36, v37, 0x3f2aaada
	v_ldexp_f32 v37, v32, 1
	v_sub_f32_e32 v32, v32, v33
	s_or_b32 vcc_lo, s0, vcc_lo
	s_delay_alu instid0(VALU_DEP_3) | instskip(NEXT) | instid1(VALU_DEP_2)
	v_mul_f32_e32 v36, v38, v36
	v_sub_f32_e32 v18, v18, v32
	s_delay_alu instid0(VALU_DEP_2) | instskip(NEXT) | instid1(VALU_DEP_2)
	v_add_f32_e32 v33, v37, v36
	v_ldexp_f32 v18, v18, 1
	s_delay_alu instid0(VALU_DEP_2) | instskip(NEXT) | instid1(VALU_DEP_1)
	v_sub_f32_e32 v32, v33, v37
	v_sub_f32_e32 v32, v36, v32
	s_delay_alu instid0(VALU_DEP_1) | instskip(NEXT) | instid1(VALU_DEP_1)
	v_add_f32_e32 v18, v18, v32
	v_add_f32_e32 v36, v33, v18
	v_mul_f32_e32 v38, 0x3f317218, v17
	s_delay_alu instid0(VALU_DEP_2) | instskip(NEXT) | instid1(VALU_DEP_2)
	v_sub_f32_e32 v33, v36, v33
	v_fma_f32 v37, 0x3f317218, v17, -v38
	s_delay_alu instid0(VALU_DEP_1) | instskip(NEXT) | instid1(VALU_DEP_1)
	v_dual_sub_f32 v18, v18, v33 :: v_dual_fmamk_f32 v17, v17, 0xb102e308, v37
	v_add_f32_e32 v32, v38, v17
	s_delay_alu instid0(VALU_DEP_1) | instskip(NEXT) | instid1(VALU_DEP_1)
	v_add_f32_e32 v37, v32, v36
	v_dual_sub_f32 v38, v32, v38 :: v_dual_sub_f32 v39, v37, v32
	s_delay_alu instid0(VALU_DEP_1) | instskip(NEXT) | instid1(VALU_DEP_2)
	v_sub_f32_e32 v17, v17, v38
	v_sub_f32_e32 v43, v37, v39
	s_delay_alu instid0(VALU_DEP_2) | instskip(NEXT) | instid1(VALU_DEP_2)
	v_dual_sub_f32 v33, v36, v39 :: v_dual_add_f32 v36, v17, v18
	v_sub_f32_e32 v32, v32, v43
	s_delay_alu instid0(VALU_DEP_1) | instskip(NEXT) | instid1(VALU_DEP_1)
	v_dual_add_f32 v32, v33, v32 :: v_dual_sub_f32 v33, v36, v17
	v_add_f32_e32 v32, v36, v32
	s_delay_alu instid0(VALU_DEP_2) | instskip(SKIP_1) | instid1(VALU_DEP_3)
	v_sub_f32_e32 v36, v36, v33
	v_sub_f32_e32 v18, v18, v33
	v_add_f32_e32 v38, v37, v32
	s_delay_alu instid0(VALU_DEP_3) | instskip(NEXT) | instid1(VALU_DEP_2)
	v_sub_f32_e32 v17, v17, v36
	v_sub_f32_e32 v33, v38, v37
	s_delay_alu instid0(VALU_DEP_2) | instskip(NEXT) | instid1(VALU_DEP_2)
	v_add_f32_e32 v17, v18, v17
	v_sub_f32_e32 v18, v32, v33
	s_delay_alu instid0(VALU_DEP_1) | instskip(NEXT) | instid1(VALU_DEP_1)
	v_add_f32_e32 v17, v17, v18
	v_add_f32_e32 v17, v38, v17
	s_delay_alu instid0(VALU_DEP_1)
	v_cndmask_b32_e32 v0, v17, v0, vcc_lo
.LBB8_28:
	s_or_b32 exec_lo, exec_lo, s1
	v_mad_i64_i32 v[17:18], null, s6, 24, v[49:50]
	s_delay_alu instid0(VALU_DEP_2)
	v_dual_mov_b32 v32, 0 :: v_dual_mul_f32 v33, v0, v14
	v_mul_f32_e32 v57, v0, v15
	v_mul_f32_e32 v59, v0, v9
	s_add_u32 s0, s30, s20
	s_mul_i32 s1, s14, s5
	global_load_b32 v17, v[17:18], off
	v_mul_f32_e32 v72, 0x3fb8aa3b, v33
	v_dual_mul_f32 v60, v0, v10 :: v_dual_mul_f32 v73, 0x3fb8aa3b, v57
	v_mul_f32_e32 v61, v0, v11
	v_dual_mul_f32 v18, v0, v13 :: v_dual_mul_f32 v75, 0x3fb8aa3b, v59
	s_delay_alu instid0(VALU_DEP_3) | instskip(NEXT) | instid1(VALU_DEP_3)
	v_mul_f32_e32 v76, 0x3fb8aa3b, v60
	v_dual_mul_f32 v62, v0, v12 :: v_dual_mul_f32 v77, 0x3fb8aa3b, v61
	v_mul_f32_e32 v63, v0, v5
	s_delay_alu instid0(VALU_DEP_4) | instskip(NEXT) | instid1(VALU_DEP_3)
	v_dual_mul_f32 v58, v0, v16 :: v_dual_mul_f32 v71, 0x3fb8aa3b, v18
	v_mul_f32_e32 v78, 0x3fb8aa3b, v62
	s_delay_alu instid0(VALU_DEP_3) | instskip(SKIP_1) | instid1(VALU_DEP_4)
	v_dual_mul_f32 v64, v0, v6 :: v_dual_mul_f32 v79, 0x3fb8aa3b, v63
	v_mul_f32_e32 v65, v0, v7
	v_rndne_f32_e32 v87, v71
	v_mul_f32_e32 v70, v0, v4
	s_delay_alu instid0(VALU_DEP_4) | instskip(NEXT) | instid1(VALU_DEP_4)
	v_mul_f32_e32 v80, 0x3fb8aa3b, v64
	v_dual_mul_f32 v66, v0, v8 :: v_dual_mul_f32 v81, 0x3fb8aa3b, v65
	v_mul_f32_e32 v67, v0, v1
	v_fma_f32 v86, 0x3fb8aa3b, v18, -v71
	s_delay_alu instid0(VALU_DEP_3) | instskip(NEXT) | instid1(VALU_DEP_3)
	v_dual_sub_f32 v71, v71, v87 :: v_dual_mul_f32 v82, 0x3fb8aa3b, v66
	v_dual_mul_f32 v68, v0, v2 :: v_dual_mul_f32 v83, 0x3fb8aa3b, v67
	v_mul_f32_e32 v69, v0, v3
	ds_load_b128 v[1:4], v32
	ds_load_b128 v[5:8], v32 offset:16
	ds_load_b128 v[9:12], v32 offset:32
	ds_load_b128 v[13:16], v32 offset:48
	ds_load_b128 v[36:39], v32 offset:64
	ds_load_b128 v[43:46], v32 offset:80
	ds_load_b128 v[49:52], v32 offset:96
	ds_load_b128 v[53:56], v32 offset:112
	v_mul_f32_e32 v32, 0x3fb8aa3b, v68
	v_dual_mul_f32 v84, 0x3fb8aa3b, v69 :: v_dual_mul_f32 v85, 0x3fb8aa3b, v70
	v_mul_f32_e32 v74, 0x3fb8aa3b, v58
	v_fma_f32 v94, 0x3fb8aa3b, v59, -v75
	v_fma_f32 v100, 0x3fb8aa3b, v62, -v78
	;; [unrolled: 1-line block ×4, first 2 shown]
	v_rndne_f32_e32 v117, v85
	v_fmac_f32_e32 v94, 0x32a5705f, v59
	v_rndne_f32_e32 v89, v72
	v_rndne_f32_e32 v91, v73
	s_delay_alu instid0(VALU_DEP_4)
	v_dual_fmac_f32 v116, 0x32a5705f, v70 :: v_dual_sub_f32 v85, v85, v117
	v_fma_f32 v96, 0x3fb8aa3b, v60, -v76
	v_fmac_f32_e32 v86, 0x32a5705f, v18
	v_fma_f32 v90, 0x3fb8aa3b, v57, -v73
	v_sub_f32_e32 v73, v73, v91
	v_rndne_f32_e32 v95, v75
	v_rndne_f32_e32 v99, v77
	v_fmac_f32_e32 v88, 0x32a5705f, v33
	v_sub_f32_e32 v72, v72, v89
	v_dual_fmac_f32 v96, 0x32a5705f, v60 :: v_dual_add_f32 v71, v71, v86
	v_cvt_i32_f32_e32 v117, v117
	v_fma_f32 v92, 0x3fb8aa3b, v58, -v74
	v_rndne_f32_e32 v93, v74
	v_rndne_f32_e32 v97, v76
	v_fma_f32 v98, 0x3fb8aa3b, v61, -v77
	v_rndne_f32_e32 v103, v79
	v_dual_fmac_f32 v90, 0x32a5705f, v57 :: v_dual_sub_f32 v75, v75, v95
	v_sub_f32_e32 v77, v77, v99
	v_exp_f32_e32 v71, v71
	v_fma_f32 v102, 0x3fb8aa3b, v63, -v79
	v_sub_f32_e32 v79, v79, v103
	v_rndne_f32_e32 v107, v81
	v_rndne_f32_e32 v111, v83
	v_fma_f32 v114, 0x3fb8aa3b, v69, -v84
	v_cvt_i32_f32_e32 v87, v87
	v_fmac_f32_e32 v92, 0x32a5705f, v58
	v_sub_f32_e32 v74, v74, v93
	v_dual_sub_f32 v76, v76, v97 :: v_dual_add_f32 v73, v73, v90
	v_rndne_f32_e32 v101, v78
	v_fma_f32 v106, 0x3fb8aa3b, v65, -v81
	v_fma_f32 v110, 0x3fb8aa3b, v67, -v83
	v_cvt_i32_f32_e32 v89, v89
	v_sub_f32_e32 v81, v81, v107
	v_sub_f32_e32 v83, v83, v111
	v_exp_f32_e32 v73, v73
	v_ldexp_f32 v71, v71, v87
	v_cmp_ngt_f32_e32 vcc_lo, 0xc2ce8ed0, v18
	v_cvt_i32_f32_e32 v91, v91
	v_dual_fmac_f32 v98, 0x32a5705f, v61 :: v_dual_add_f32 v75, v75, v94
	v_sub_f32_e32 v78, v78, v101
	v_dual_fmac_f32 v106, 0x32a5705f, v65 :: v_dual_cndmask_b32 v71, 0, v71
	v_cmp_ngt_f32_e32 vcc_lo, 0xc2ce8ed0, v33
	v_fma_f32 v108, 0x3fb8aa3b, v66, -v82
	v_cvt_i32_f32_e32 v93, v93
	v_add_f32_e32 v77, v77, v98
	v_ldexp_f32 v73, v73, v91
	v_exp_f32_e32 v75, v75
	v_cvt_i32_f32_e32 v95, v95
	v_rndne_f32_e32 v109, v82
	v_cvt_i32_f32_e32 v97, v97
	v_exp_f32_e32 v77, v77
	v_cvt_i32_f32_e32 v99, v99
	v_fma_f32 v104, 0x3fb8aa3b, v64, -v80
	v_rndne_f32_e32 v105, v80
	v_dual_fmac_f32 v102, 0x32a5705f, v63 :: v_dual_add_f32 v81, v81, v106
	s_delay_alu instid0(TRANS32_DEP_2) | instskip(NEXT) | instid1(VALU_DEP_4)
	v_ldexp_f32 v75, v75, v95
	v_fmac_f32_e32 v104, 0x32a5705f, v64
	v_cvt_i32_f32_e32 v101, v101
	s_delay_alu instid0(VALU_DEP_4) | instskip(NEXT) | instid1(TRANS32_DEP_1)
	v_add_f32_e32 v79, v79, v102
	v_ldexp_f32 v77, v77, v99
	v_cvt_i32_f32_e32 v103, v103
	v_fma_f32 v112, 0x3fb8aa3b, v68, -v32
	v_exp_f32_e32 v81, v81
	v_exp_f32_e32 v79, v79
	v_cvt_i32_f32_e32 v107, v107
	v_rndne_f32_e32 v115, v84
	v_rndne_f32_e32 v113, v32
	v_cvt_i32_f32_e32 v111, v111
	s_addc_u32 s2, s31, s21
	s_add_u32 s0, s0, s1
	s_addc_u32 s1, s2, 0
	s_add_u32 s0, s0, s28
	s_waitcnt_depctr 0xfff
	v_ldexp_f32 v81, v81, v107
	v_ldexp_f32 v79, v79, v103
	s_addc_u32 s1, s1, s29
	s_waitcnt vmcnt(0)
	v_dual_mul_f32 v17, v0, v17 :: v_dual_fmac_f32 v100, 0x32a5705f, v62
	v_dual_add_f32 v85, v85, v116 :: v_dual_fmac_f32 v114, 0x32a5705f, v69
	s_waitcnt lgkmcnt(7)
	s_delay_alu instid0(VALU_DEP_2) | instskip(SKIP_1) | instid1(VALU_DEP_3)
	v_mul_f32_e32 v0, v17, v1
	v_mul_f32_e32 v1, v17, v2
	v_exp_f32_e32 v85, v85
	v_add_f32_e32 v74, v74, v92
	v_add_f32_e32 v78, v78, v100
	v_mul_f32_e32 v2, v17, v3
	v_mul_f32_e32 v3, v17, v4
	s_waitcnt lgkmcnt(6)
	v_mul_f32_e32 v4, v17, v5
	v_exp_f32_e32 v74, v74
	v_mul_f32_e32 v5, v17, v6
	v_mul_f32_e32 v6, v17, v7
	;; [unrolled: 1-line block ×3, first 2 shown]
	v_ldexp_f32 v85, v85, v117
	v_add_f32_e32 v72, v72, v88
	s_waitcnt lgkmcnt(5)
	v_mul_f32_e32 v8, v17, v9
	v_mul_f32_e32 v9, v17, v10
	;; [unrolled: 1-line block ×4, first 2 shown]
	v_exp_f32_e32 v72, v72
	v_ldexp_f32 v74, v74, v93
	v_exp_f32_e32 v78, v78
	s_waitcnt lgkmcnt(4)
	v_mul_f32_e32 v12, v17, v13
	v_mul_f32_e32 v13, v17, v14
	;; [unrolled: 1-line block ×4, first 2 shown]
	v_mad_i64_i32 v[16:17], null, s12, 24, v[47:48]
	s_delay_alu instid0(TRANS32_DEP_2) | instskip(NEXT) | instid1(TRANS32_DEP_1)
	v_ldexp_f32 v72, v72, v89
	v_ldexp_f32 v78, v78, v101
	s_delay_alu instid0(VALU_DEP_2)
	v_cndmask_b32_e32 v72, 0, v72, vcc_lo
	v_cmp_ngt_f32_e32 vcc_lo, 0xc2ce8ed0, v57
	v_dual_fmac_f32 v108, 0x32a5705f, v66 :: v_dual_cndmask_b32 v73, 0, v73
	v_cmp_ngt_f32_e32 vcc_lo, 0xc2ce8ed0, v58
	v_cndmask_b32_e32 v74, 0, v74, vcc_lo
	v_add_f32_e32 v76, v76, v96
	v_cmp_ngt_f32_e32 vcc_lo, 0xc2ce8ed0, v59
	v_sub_f32_e32 v82, v82, v109
	v_cvt_i32_f32_e32 v109, v109
	s_delay_alu instid0(VALU_DEP_4) | instskip(SKIP_3) | instid1(VALU_DEP_1)
	v_exp_f32_e32 v76, v76
	v_cndmask_b32_e32 v75, 0, v75, vcc_lo
	v_cmp_ngt_f32_e32 vcc_lo, 0xc2ce8ed0, v60
	v_add_f32_e32 v82, v82, v108
	v_exp_f32_e32 v82, v82
	s_waitcnt_depctr 0xfff
	v_ldexp_f32 v76, v76, v97
	s_delay_alu instid0(VALU_DEP_1) | instskip(SKIP_4) | instid1(VALU_DEP_3)
	v_cndmask_b32_e32 v76, 0, v76, vcc_lo
	v_cmp_ngt_f32_e32 vcc_lo, 0xc2ce8ed0, v61
	v_fmac_f32_e32 v110, 0x32a5705f, v67
	v_ldexp_f32 v82, v82, v109
	v_cndmask_b32_e32 v77, 0, v77, vcc_lo
	v_dual_sub_f32 v80, v80, v105 :: v_dual_add_f32 v83, v83, v110
	v_cmp_ngt_f32_e32 vcc_lo, 0xc2ce8ed0, v62
	v_cvt_i32_f32_e32 v105, v105
	s_delay_alu instid0(VALU_DEP_3) | instskip(NEXT) | instid1(VALU_DEP_4)
	v_add_f32_e32 v80, v80, v104
	v_exp_f32_e32 v83, v83
	v_cndmask_b32_e32 v78, 0, v78, vcc_lo
	v_cmp_ngt_f32_e32 vcc_lo, 0xc2ce8ed0, v63
	v_fmac_f32_e32 v112, 0x32a5705f, v68
	v_exp_f32_e32 v80, v80
	v_cndmask_b32_e32 v79, 0, v79, vcc_lo
	v_cmp_ngt_f32_e32 vcc_lo, 0xc2ce8ed0, v64
	s_delay_alu instid0(TRANS32_DEP_2) | instskip(SKIP_2) | instid1(VALU_DEP_1)
	v_ldexp_f32 v83, v83, v111
	s_waitcnt_depctr 0xfff
	v_ldexp_f32 v80, v80, v105
	v_cndmask_b32_e32 v80, 0, v80, vcc_lo
	v_cmp_ngt_f32_e32 vcc_lo, 0xc2ce8ed0, v65
	v_sub_f32_e32 v84, v84, v115
	v_cvt_i32_f32_e32 v115, v115
	v_cndmask_b32_e32 v81, 0, v81, vcc_lo
	v_cmp_ngt_f32_e32 vcc_lo, 0xc2ce8ed0, v66
	s_delay_alu instid0(VALU_DEP_4)
	v_add_f32_e32 v84, v84, v114
	v_cndmask_b32_e32 v82, 0, v82, vcc_lo
	v_cmp_ngt_f32_e32 vcc_lo, 0xc2ce8ed0, v67
	v_sub_f32_e32 v32, v32, v113
	v_cvt_i32_f32_e32 v113, v113
	v_exp_f32_e32 v84, v84
	s_delay_alu instid0(VALU_DEP_2) | instskip(SKIP_1) | instid1(VALU_DEP_2)
	v_dual_cndmask_b32 v83, 0, v83 :: v_dual_add_f32 v32, v32, v112
	v_cmp_ngt_f32_e32 vcc_lo, 0xc2ce8ed0, v68
	v_exp_f32_e32 v32, v32
	s_waitcnt_depctr 0xfff
	v_ldexp_f32 v84, v84, v115
	v_ldexp_f32 v32, v32, v113
	s_delay_alu instid0(VALU_DEP_1) | instskip(SKIP_1) | instid1(VALU_DEP_4)
	v_cndmask_b32_e32 v32, 0, v32, vcc_lo
	v_cmp_ngt_f32_e32 vcc_lo, 0xc2ce8ed0, v69
	v_cndmask_b32_e32 v84, 0, v84, vcc_lo
	v_cmp_nlt_f32_e32 vcc_lo, 0x42b17218, v18
	v_cndmask_b32_e32 v18, 0x7f800000, v71, vcc_lo
	v_cmp_ngt_f32_e32 vcc_lo, 0xc2ce8ed0, v70
	s_delay_alu instid0(VALU_DEP_2) | instskip(SKIP_3) | instid1(VALU_DEP_2)
	v_dual_fmac_f32 v0, v20, v18 :: v_dual_cndmask_b32 v71, 0, v85
	v_cmp_nlt_f32_e32 vcc_lo, 0x42b17218, v33
	v_cndmask_b32_e32 v33, 0x7f800000, v72, vcc_lo
	v_cmp_nlt_f32_e32 vcc_lo, 0x42b17218, v57
	v_fmac_f32_e32 v1, v40, v33
	v_cndmask_b32_e32 v18, 0x7f800000, v73, vcc_lo
	v_cmp_nlt_f32_e32 vcc_lo, 0x42b17218, v58
	s_delay_alu instid0(VALU_DEP_2) | instskip(SKIP_4) | instid1(VALU_DEP_4)
	v_fmac_f32_e32 v2, v21, v18
	v_cndmask_b32_e32 v33, 0x7f800000, v74, vcc_lo
	v_cmp_nlt_f32_e32 vcc_lo, 0x42b17218, v59
	v_cndmask_b32_e32 v18, 0x7f800000, v75, vcc_lo
	v_cmp_nlt_f32_e32 vcc_lo, 0x42b17218, v60
	v_fmac_f32_e32 v3, v34, v33
	s_delay_alu instid0(VALU_DEP_3) | instskip(SKIP_1) | instid1(VALU_DEP_2)
	v_dual_fmac_f32 v4, v22, v18 :: v_dual_cndmask_b32 v21, 0x7f800000, v76
	v_cmp_nlt_f32_e32 vcc_lo, 0x42b17218, v61
	v_fmac_f32_e32 v5, v35, v21
	v_cndmask_b32_e32 v18, 0x7f800000, v77, vcc_lo
	v_cmp_nlt_f32_e32 vcc_lo, 0x42b17218, v62
	s_delay_alu instid0(VALU_DEP_2) | instskip(SKIP_2) | instid1(VALU_DEP_2)
	v_fmac_f32_e32 v6, v23, v18
	v_cndmask_b32_e32 v21, 0x7f800000, v78, vcc_lo
	v_cmp_nlt_f32_e32 vcc_lo, 0x42b17218, v63
	v_dual_fmac_f32 v7, v24, v21 :: v_dual_cndmask_b32 v18, 0x7f800000, v79
	v_cmp_nlt_f32_e32 vcc_lo, 0x42b17218, v64
	s_delay_alu instid0(VALU_DEP_2) | instskip(SKIP_3) | instid1(VALU_DEP_3)
	v_dual_fmac_f32 v8, v25, v18 :: v_dual_cndmask_b32 v21, 0x7f800000, v80
	v_cmp_nlt_f32_e32 vcc_lo, 0x42b17218, v65
	s_waitcnt lgkmcnt(3)
	v_fma_f32 v20, v36, v0, 0
	v_fmac_f32_e32 v9, v26, v21
	v_cndmask_b32_e32 v18, 0x7f800000, v81, vcc_lo
	v_cmp_nlt_f32_e32 vcc_lo, 0x42b17218, v66
	s_delay_alu instid0(VALU_DEP_2) | instskip(SKIP_2) | instid1(VALU_DEP_2)
	v_fmac_f32_e32 v10, v27, v18
	v_cndmask_b32_e32 v21, 0x7f800000, v82, vcc_lo
	v_cmp_nlt_f32_e32 vcc_lo, 0x42b17218, v67
	v_dual_fmac_f32 v11, v28, v21 :: v_dual_cndmask_b32 v18, 0x7f800000, v83
	v_cmp_nlt_f32_e32 vcc_lo, 0x42b17218, v68
	s_delay_alu instid0(VALU_DEP_2) | instskip(SKIP_1) | instid1(VALU_DEP_2)
	v_dual_fmac_f32 v12, v29, v18 :: v_dual_cndmask_b32 v21, 0x7f800000, v32
	v_cmp_nlt_f32_e32 vcc_lo, 0x42b17218, v69
	v_dual_fmac_f32 v13, v30, v21 :: v_dual_cndmask_b32 v18, 0x7f800000, v84
	v_cmp_nlt_f32_e32 vcc_lo, 0x42b17218, v70
	v_fmac_f32_e32 v20, v37, v1
	s_delay_alu instid0(VALU_DEP_3) | instskip(NEXT) | instid1(VALU_DEP_2)
	v_dual_fmac_f32 v14, v31, v18 :: v_dual_cndmask_b32 v21, 0x7f800000, v71
	v_fmac_f32_e32 v20, v38, v2
	v_add_co_u32 v18, vcc_lo, s0, v41
	s_delay_alu instid0(VALU_DEP_3) | instskip(NEXT) | instid1(VALU_DEP_3)
	v_fmac_f32_e32 v15, v19, v21
	v_fmac_f32_e32 v20, v39, v3
	v_add_co_ci_u32_e32 v19, vcc_lo, s1, v42, vcc_lo
	s_waitcnt lgkmcnt(2)
	s_delay_alu instid0(VALU_DEP_2) | instskip(NEXT) | instid1(VALU_DEP_1)
	v_fmac_f32_e32 v20, v43, v4
	v_fmac_f32_e32 v20, v44, v5
	s_delay_alu instid0(VALU_DEP_1) | instskip(NEXT) | instid1(VALU_DEP_1)
	v_fmac_f32_e32 v20, v45, v6
	v_fmac_f32_e32 v20, v46, v7
	s_waitcnt lgkmcnt(1)
	s_delay_alu instid0(VALU_DEP_1) | instskip(NEXT) | instid1(VALU_DEP_1)
	v_fmac_f32_e32 v20, v49, v8
	v_fmac_f32_e32 v20, v50, v9
	s_delay_alu instid0(VALU_DEP_1) | instskip(NEXT) | instid1(VALU_DEP_1)
	v_fmac_f32_e32 v20, v51, v10
	v_fmac_f32_e32 v20, v52, v11
	s_waitcnt lgkmcnt(0)
	s_delay_alu instid0(VALU_DEP_1) | instskip(NEXT) | instid1(VALU_DEP_1)
	v_fmac_f32_e32 v20, v53, v12
	v_fmac_f32_e32 v20, v54, v13
	s_delay_alu instid0(VALU_DEP_1) | instskip(NEXT) | instid1(VALU_DEP_1)
	v_fmac_f32_e32 v20, v55, v14
	v_fmac_f32_e32 v20, v56, v15
	global_store_b32 v[16:17], v20, off
	s_waitcnt_vscnt null, 0x0
	s_barrier
	buffer_gl0_inv
	s_clause 0x3
	global_store_b128 v[18:19], v[0:3], off
	global_store_b128 v[18:19], v[4:7], off offset:16
	global_store_b128 v[18:19], v[8:11], off offset:32
	;; [unrolled: 1-line block ×3, first 2 shown]
	s_nop 0
	s_sendmsg sendmsg(MSG_DEALLOC_VGPRS)
	s_endpgm
	.section	.rodata,"a",@progbits
	.p2align	6, 0x0
	.amdhsa_kernel _Z12ssm_scan_f32ILm128ELm16ELm7EEvPKfS1_S1_S1_S1_S1_PKiPfiiiiiiiiiiilll
		.amdhsa_group_segment_fixed_size 128
		.amdhsa_private_segment_fixed_size 0
		.amdhsa_kernarg_size 136
		.amdhsa_user_sgpr_count 14
		.amdhsa_user_sgpr_dispatch_ptr 0
		.amdhsa_user_sgpr_queue_ptr 0
		.amdhsa_user_sgpr_kernarg_segment_ptr 1
		.amdhsa_user_sgpr_dispatch_id 0
		.amdhsa_user_sgpr_private_segment_size 0
		.amdhsa_wavefront_size32 1
		.amdhsa_uses_dynamic_stack 0
		.amdhsa_enable_private_segment 0
		.amdhsa_system_sgpr_workgroup_id_x 1
		.amdhsa_system_sgpr_workgroup_id_y 1
		.amdhsa_system_sgpr_workgroup_id_z 0
		.amdhsa_system_sgpr_workgroup_info 0
		.amdhsa_system_vgpr_workitem_id 0
		.amdhsa_next_free_vgpr 146
		.amdhsa_next_free_sgpr 40
		.amdhsa_reserve_vcc 1
		.amdhsa_float_round_mode_32 0
		.amdhsa_float_round_mode_16_64 0
		.amdhsa_float_denorm_mode_32 3
		.amdhsa_float_denorm_mode_16_64 3
		.amdhsa_dx10_clamp 1
		.amdhsa_ieee_mode 1
		.amdhsa_fp16_overflow 0
		.amdhsa_workgroup_processor_mode 1
		.amdhsa_memory_ordered 1
		.amdhsa_forward_progress 0
		.amdhsa_shared_vgpr_count 0
		.amdhsa_exception_fp_ieee_invalid_op 0
		.amdhsa_exception_fp_denorm_src 0
		.amdhsa_exception_fp_ieee_div_zero 0
		.amdhsa_exception_fp_ieee_overflow 0
		.amdhsa_exception_fp_ieee_underflow 0
		.amdhsa_exception_fp_ieee_inexact 0
		.amdhsa_exception_int_div_zero 0
	.end_amdhsa_kernel
	.section	.text._Z12ssm_scan_f32ILm128ELm16ELm7EEvPKfS1_S1_S1_S1_S1_PKiPfiiiiiiiiiiilll,"axG",@progbits,_Z12ssm_scan_f32ILm128ELm16ELm7EEvPKfS1_S1_S1_S1_S1_PKiPfiiiiiiiiiiilll,comdat
.Lfunc_end8:
	.size	_Z12ssm_scan_f32ILm128ELm16ELm7EEvPKfS1_S1_S1_S1_S1_PKiPfiiiiiiiiiiilll, .Lfunc_end8-_Z12ssm_scan_f32ILm128ELm16ELm7EEvPKfS1_S1_S1_S1_S1_PKiPfiiiiiiiiiiilll
                                        ; -- End function
	.section	.AMDGPU.csdata,"",@progbits
; Kernel info:
; codeLenInByte = 22084
; NumSgprs: 42
; NumVgprs: 146
; ScratchSize: 0
; MemoryBound: 0
; FloatMode: 240
; IeeeMode: 1
; LDSByteSize: 128 bytes/workgroup (compile time only)
; SGPRBlocks: 5
; VGPRBlocks: 18
; NumSGPRsForWavesPerEU: 42
; NumVGPRsForWavesPerEU: 146
; Occupancy: 9
; WaveLimiterHint : 1
; COMPUTE_PGM_RSRC2:SCRATCH_EN: 0
; COMPUTE_PGM_RSRC2:USER_SGPR: 14
; COMPUTE_PGM_RSRC2:TRAP_HANDLER: 0
; COMPUTE_PGM_RSRC2:TGID_X_EN: 1
; COMPUTE_PGM_RSRC2:TGID_Y_EN: 1
; COMPUTE_PGM_RSRC2:TGID_Z_EN: 0
; COMPUTE_PGM_RSRC2:TIDIG_COMP_CNT: 0
	.section	.text._Z12ssm_scan_f32ILm128ELm16ELm8EEvPKfS1_S1_S1_S1_S1_PKiPfiiiiiiiiiiilll,"axG",@progbits,_Z12ssm_scan_f32ILm128ELm16ELm8EEvPKfS1_S1_S1_S1_S1_PKiPfiiiiiiiiiiilll,comdat
	.protected	_Z12ssm_scan_f32ILm128ELm16ELm8EEvPKfS1_S1_S1_S1_S1_PKiPfiiiiiiiiiiilll ; -- Begin function _Z12ssm_scan_f32ILm128ELm16ELm8EEvPKfS1_S1_S1_S1_S1_PKiPfiiiiiiiiiiilll
	.globl	_Z12ssm_scan_f32ILm128ELm16ELm8EEvPKfS1_S1_S1_S1_S1_PKiPfiiiiiiiiiiilll
	.p2align	8
	.type	_Z12ssm_scan_f32ILm128ELm16ELm8EEvPKfS1_S1_S1_S1_S1_PKiPfiiiiiiiiiiilll,@function
_Z12ssm_scan_f32ILm128ELm16ELm8EEvPKfS1_S1_S1_S1_S1_PKiPfiiiiiiiiiiilll: ; @_Z12ssm_scan_f32ILm128ELm16ELm8EEvPKfS1_S1_S1_S1_S1_PKiPfiiiiiiiiiiilll
; %bb.0:
	s_load_b512 s[16:31], s[0:1], 0x0
	s_mov_b32 s2, s15
	s_mov_b32 s15, 0
	v_dual_mov_b32 v2, 0 :: v_dual_lshlrev_b32 v55, 2, v0
	s_lshl_b64 s[4:5], s[14:15], 2
	s_load_b128 s[36:39], s[0:1], 0x60
	s_waitcnt lgkmcnt(0)
	s_add_u32 s12, s28, s4
	s_addc_u32 s13, s29, s5
	s_load_b256 s[4:11], s[0:1], 0x40
	s_load_b32 s3, s[12:13], 0x0
	s_waitcnt lgkmcnt(0)
	s_mul_i32 s3, s3, s5
	s_delay_alu instid0(SALU_CYCLE_1)
	s_ashr_i32 s12, s3, 31
	s_add_u32 s3, s16, s3
	s_addc_u32 s12, s17, s12
	s_lshl_b32 s13, s2, 7
	s_ashr_i32 s16, s4, 31
	s_lshr_b32 s17, s2, 25
	s_mul_i32 s16, s13, s16
	s_mul_hi_u32 s28, s13, s4
	s_mul_i32 s29, s17, s4
	s_add_i32 s16, s28, s16
	s_mul_i32 s28, s13, s4
	s_add_i32 s29, s16, s29
	s_add_u32 s3, s3, s28
	s_addc_u32 s12, s12, s29
	s_ashr_i32 s16, s10, 31
	s_mul_hi_u32 s33, s13, s10
	s_mul_i32 s16, s13, s16
	s_mul_i32 s17, s17, s10
	s_add_i32 s16, s33, s16
	s_mul_i32 s13, s13, s10
	s_add_i32 s16, s16, s17
	s_add_u32 s13, s22, s13
	s_addc_u32 s16, s23, s16
	s_ashr_i32 s10, s10, 2
	s_ashr_i32 s4, s4, 2
	v_mul_lo_u32 v1, s10, v0
	s_delay_alu instid0(VALU_DEP_1) | instskip(SKIP_2) | instid1(VALU_DEP_2)
	v_lshlrev_b64 v[3:4], 2, v[1:2]
	v_mul_lo_u32 v1, s4, v0
	s_mul_i32 s4, s14, s38
	v_add_co_u32 v13, vcc_lo, s13, v3
	s_delay_alu instid0(VALU_DEP_3) | instskip(NEXT) | instid1(VALU_DEP_3)
	v_add_co_ci_u32_e32 v14, vcc_lo, s16, v4, vcc_lo
	v_lshlrev_b64 v[41:42], 2, v[1:2]
	s_delay_alu instid0(VALU_DEP_1) | instskip(NEXT) | instid1(VALU_DEP_2)
	v_add_co_u32 v29, vcc_lo, s3, v41
	v_add_co_ci_u32_e32 v30, vcc_lo, s12, v42, vcc_lo
	s_clause 0x3
	global_load_b128 v[1:4], v[13:14], off offset:48
	global_load_b128 v[5:8], v[13:14], off offset:32
	;; [unrolled: 1-line block ×3, first 2 shown]
	global_load_b128 v[13:16], v[13:14], off
	s_clause 0x3
	global_load_b128 v[17:20], v[29:30], off offset:48
	global_load_b128 v[21:24], v[29:30], off offset:32
	;; [unrolled: 1-line block ×3, first 2 shown]
	global_load_b128 v[29:32], v[29:30], off
	s_mul_i32 s3, s14, s36
	v_cmp_gt_u32_e32 vcc_lo, 16, v0
	s_add_u32 s3, s24, s3
	s_addc_u32 s10, s25, 0
	s_add_u32 s4, s26, s4
	v_add_co_u32 v43, s3, s3, v55
	s_addc_u32 s12, s27, 0
	v_add_co_ci_u32_e64 v44, null, s10, 0, s3
	v_add_co_u32 v45, s3, s4, v55
	s_delay_alu instid0(VALU_DEP_1)
	v_add_co_ci_u32_e64 v46, null, s12, 0, s3
	v_add_nc_u32_e32 v0, 64, v55
	s_mov_b32 s3, s15
	s_and_saveexec_b32 s4, vcc_lo
	s_cbranch_execz .LBB9_2
; %bb.1:
	global_load_b32 v33, v[43:44], off
	global_load_b32 v34, v[45:46], off
	s_waitcnt vmcnt(1)
	ds_store_b32 v55, v33
	s_waitcnt vmcnt(0)
	ds_store_b32 v0, v34
.LBB9_2:
	s_or_b32 exec_lo, exec_lo, s4
	s_mul_i32 s4, s14, s9
	s_lshl_b64 s[12:13], s[2:3], 9
	s_add_u32 s2, s20, s4
	s_addc_u32 s3, s21, 0
	s_add_u32 s2, s2, s12
	s_addc_u32 s3, s3, s13
	s_waitcnt vmcnt(0) lgkmcnt(0)
	s_barrier
	buffer_gl0_inv
	global_load_b32 v35, v55, s[2:3]
	v_add_co_u32 v33, s2, s2, v55
	s_delay_alu instid0(VALU_DEP_1)
	v_add_co_ci_u32_e64 v34, null, s3, 0, s2
	s_mov_b32 s4, exec_lo
	s_waitcnt vmcnt(0)
	v_cmpx_ge_f32_e32 0x41a00000, v35
	s_cbranch_execz .LBB9_4
; %bb.3:
	v_mul_f32_e32 v36, 0x3fb8aa3b, v35
	v_cmp_ngt_f32_e64 s2, 0xc2ce8ed0, v35
	s_delay_alu instid0(VALU_DEP_2) | instskip(SKIP_1) | instid1(VALU_DEP_2)
	v_rndne_f32_e32 v37, v36
	v_fma_f32 v38, 0x3fb8aa3b, v35, -v36
	v_sub_f32_e32 v36, v36, v37
	s_delay_alu instid0(VALU_DEP_2) | instskip(SKIP_1) | instid1(VALU_DEP_2)
	v_fmamk_f32 v38, v35, 0x32a5705f, v38
	v_cvt_i32_f32_e32 v37, v37
	v_add_f32_e32 v36, v36, v38
	s_delay_alu instid0(VALU_DEP_1) | instskip(SKIP_2) | instid1(VALU_DEP_1)
	v_exp_f32_e32 v36, v36
	s_waitcnt_depctr 0xfff
	v_ldexp_f32 v36, v36, v37
	v_cndmask_b32_e64 v36, 0, v36, s2
	v_cmp_nlt_f32_e64 s2, 0x42b17218, v35
	s_delay_alu instid0(VALU_DEP_1) | instskip(NEXT) | instid1(VALU_DEP_1)
	v_cndmask_b32_e64 v37, 0x7f800000, v36, s2
	v_add_f32_e32 v38, 1.0, v37
	v_cmp_gt_f32_e64 s3, 0x33800000, v37
	s_delay_alu instid0(VALU_DEP_2) | instskip(NEXT) | instid1(VALU_DEP_1)
	v_cvt_f64_f32_e32 v[35:36], v38
	v_frexp_exp_i32_f64_e32 v35, v[35:36]
	v_frexp_mant_f32_e32 v36, v38
	s_delay_alu instid0(VALU_DEP_1) | instskip(SKIP_1) | instid1(VALU_DEP_1)
	v_cmp_gt_f32_e64 s2, 0x3f2aaaab, v36
	v_add_f32_e32 v36, -1.0, v38
	v_sub_f32_e32 v40, v36, v38
	v_sub_f32_e32 v36, v37, v36
	s_delay_alu instid0(VALU_DEP_2) | instskip(NEXT) | instid1(VALU_DEP_1)
	v_add_f32_e32 v40, 1.0, v40
	v_add_f32_e32 v36, v36, v40
	v_subrev_co_ci_u32_e64 v35, s2, 0, v35, s2
	s_mov_b32 s2, 0x3e9b6dac
	s_delay_alu instid0(VALU_DEP_1) | instskip(SKIP_1) | instid1(VALU_DEP_2)
	v_sub_nc_u32_e32 v39, 0, v35
	v_cvt_f32_i32_e32 v35, v35
	v_ldexp_f32 v38, v38, v39
	v_ldexp_f32 v36, v36, v39
	s_delay_alu instid0(VALU_DEP_2) | instskip(NEXT) | instid1(VALU_DEP_1)
	v_add_f32_e32 v47, 1.0, v38
	v_dual_add_f32 v39, -1.0, v38 :: v_dual_add_f32 v40, -1.0, v47
	s_delay_alu instid0(VALU_DEP_1) | instskip(NEXT) | instid1(VALU_DEP_2)
	v_add_f32_e32 v48, 1.0, v39
	v_sub_f32_e32 v40, v38, v40
	s_delay_alu instid0(VALU_DEP_2) | instskip(NEXT) | instid1(VALU_DEP_2)
	v_sub_f32_e32 v38, v38, v48
	v_add_f32_e32 v40, v36, v40
	s_delay_alu instid0(VALU_DEP_2) | instskip(NEXT) | instid1(VALU_DEP_2)
	v_add_f32_e32 v36, v36, v38
	v_add_f32_e32 v48, v47, v40
	s_delay_alu instid0(VALU_DEP_2) | instskip(NEXT) | instid1(VALU_DEP_2)
	v_add_f32_e32 v49, v39, v36
	v_rcp_f32_e32 v38, v48
	v_sub_f32_e32 v47, v47, v48
	s_delay_alu instid0(VALU_DEP_1) | instskip(NEXT) | instid1(VALU_DEP_1)
	v_dual_sub_f32 v39, v39, v49 :: v_dual_add_f32 v40, v40, v47
	v_add_f32_e32 v36, v36, v39
	s_waitcnt_depctr 0xfff
	v_mul_f32_e32 v50, v49, v38
	s_delay_alu instid0(VALU_DEP_1) | instskip(NEXT) | instid1(VALU_DEP_1)
	v_mul_f32_e32 v51, v48, v50
	v_fma_f32 v47, v50, v48, -v51
	s_delay_alu instid0(VALU_DEP_1) | instskip(NEXT) | instid1(VALU_DEP_1)
	v_fmac_f32_e32 v47, v50, v40
	v_add_f32_e32 v52, v51, v47
	s_delay_alu instid0(VALU_DEP_1) | instskip(SKIP_1) | instid1(VALU_DEP_2)
	v_sub_f32_e32 v53, v49, v52
	v_sub_f32_e32 v39, v52, v51
	v_sub_f32_e32 v49, v49, v53
	s_delay_alu instid0(VALU_DEP_2) | instskip(NEXT) | instid1(VALU_DEP_2)
	v_sub_f32_e32 v39, v39, v47
	v_sub_f32_e32 v49, v49, v52
	s_delay_alu instid0(VALU_DEP_1) | instskip(NEXT) | instid1(VALU_DEP_1)
	v_add_f32_e32 v36, v36, v49
	v_add_f32_e32 v36, v39, v36
	s_delay_alu instid0(VALU_DEP_1) | instskip(NEXT) | instid1(VALU_DEP_1)
	v_add_f32_e32 v39, v53, v36
	v_mul_f32_e32 v47, v38, v39
	v_sub_f32_e32 v52, v53, v39
	s_delay_alu instid0(VALU_DEP_2) | instskip(NEXT) | instid1(VALU_DEP_2)
	v_mul_f32_e32 v49, v48, v47
	v_add_f32_e32 v36, v36, v52
	s_delay_alu instid0(VALU_DEP_2) | instskip(NEXT) | instid1(VALU_DEP_1)
	v_fma_f32 v48, v47, v48, -v49
	v_fmac_f32_e32 v48, v47, v40
	s_delay_alu instid0(VALU_DEP_1) | instskip(NEXT) | instid1(VALU_DEP_1)
	v_add_f32_e32 v40, v49, v48
	v_sub_f32_e32 v51, v39, v40
	v_sub_f32_e32 v49, v40, v49
	s_delay_alu instid0(VALU_DEP_2) | instskip(NEXT) | instid1(VALU_DEP_1)
	v_sub_f32_e32 v39, v39, v51
	v_sub_f32_e32 v39, v39, v40
	s_delay_alu instid0(VALU_DEP_3) | instskip(NEXT) | instid1(VALU_DEP_2)
	v_sub_f32_e32 v40, v49, v48
	v_add_f32_e32 v36, v36, v39
	s_delay_alu instid0(VALU_DEP_1) | instskip(NEXT) | instid1(VALU_DEP_1)
	v_dual_add_f32 v39, v50, v47 :: v_dual_add_f32 v36, v40, v36
	v_sub_f32_e32 v40, v39, v50
	s_delay_alu instid0(VALU_DEP_2) | instskip(NEXT) | instid1(VALU_DEP_2)
	v_add_f32_e32 v36, v51, v36
	v_sub_f32_e32 v40, v47, v40
	s_delay_alu instid0(VALU_DEP_2) | instskip(NEXT) | instid1(VALU_DEP_1)
	v_mul_f32_e32 v36, v38, v36
	v_add_f32_e32 v36, v40, v36
	s_delay_alu instid0(VALU_DEP_1) | instskip(NEXT) | instid1(VALU_DEP_1)
	v_add_f32_e32 v38, v39, v36
	v_mul_f32_e32 v40, v38, v38
	s_delay_alu instid0(VALU_DEP_1) | instskip(SKIP_2) | instid1(VALU_DEP_3)
	v_fmaak_f32 v47, s2, v40, 0x3ecc95a3
	v_mul_f32_e32 v48, v38, v40
	v_cmp_eq_f32_e64 s2, 0x7f800000, v37
	v_fmaak_f32 v40, v40, v47, 0x3f2aaada
	v_ldexp_f32 v47, v38, 1
	v_sub_f32_e32 v38, v38, v39
	s_delay_alu instid0(VALU_DEP_4) | instskip(NEXT) | instid1(VALU_DEP_3)
	s_or_b32 s2, s3, s2
	v_mul_f32_e32 v40, v48, v40
	v_mul_f32_e32 v48, 0x3f317218, v35
	s_delay_alu instid0(VALU_DEP_2) | instskip(NEXT) | instid1(VALU_DEP_1)
	v_dual_sub_f32 v36, v36, v38 :: v_dual_add_f32 v39, v47, v40
	v_ldexp_f32 v36, v36, 1
	s_delay_alu instid0(VALU_DEP_2) | instskip(NEXT) | instid1(VALU_DEP_4)
	v_sub_f32_e32 v38, v39, v47
	v_fma_f32 v47, 0x3f317218, v35, -v48
	s_delay_alu instid0(VALU_DEP_1) | instskip(NEXT) | instid1(VALU_DEP_1)
	v_dual_sub_f32 v38, v40, v38 :: v_dual_fmamk_f32 v35, v35, 0xb102e308, v47
	v_add_f32_e32 v36, v36, v38
	s_delay_alu instid0(VALU_DEP_2) | instskip(NEXT) | instid1(VALU_DEP_2)
	v_add_f32_e32 v38, v48, v35
	v_add_f32_e32 v40, v39, v36
	s_delay_alu instid0(VALU_DEP_2) | instskip(NEXT) | instid1(VALU_DEP_2)
	v_sub_f32_e32 v48, v38, v48
	v_add_f32_e32 v47, v38, v40
	v_sub_f32_e32 v39, v40, v39
	s_delay_alu instid0(VALU_DEP_3) | instskip(NEXT) | instid1(VALU_DEP_2)
	v_sub_f32_e32 v35, v35, v48
	v_dual_sub_f32 v49, v47, v38 :: v_dual_sub_f32 v36, v36, v39
	s_delay_alu instid0(VALU_DEP_1) | instskip(NEXT) | instid1(VALU_DEP_2)
	v_sub_f32_e32 v50, v47, v49
	v_dual_sub_f32 v39, v40, v49 :: v_dual_add_f32 v40, v35, v36
	s_delay_alu instid0(VALU_DEP_2) | instskip(NEXT) | instid1(VALU_DEP_1)
	v_sub_f32_e32 v38, v38, v50
	v_dual_add_f32 v38, v39, v38 :: v_dual_sub_f32 v39, v40, v35
	s_delay_alu instid0(VALU_DEP_1) | instskip(NEXT) | instid1(VALU_DEP_2)
	v_add_f32_e32 v38, v40, v38
	v_sub_f32_e32 v40, v40, v39
	v_sub_f32_e32 v36, v36, v39
	s_delay_alu instid0(VALU_DEP_3) | instskip(NEXT) | instid1(VALU_DEP_3)
	v_add_f32_e32 v48, v47, v38
	v_sub_f32_e32 v35, v35, v40
	s_delay_alu instid0(VALU_DEP_2) | instskip(NEXT) | instid1(VALU_DEP_2)
	v_sub_f32_e32 v39, v48, v47
	v_add_f32_e32 v35, v36, v35
	s_delay_alu instid0(VALU_DEP_2) | instskip(NEXT) | instid1(VALU_DEP_1)
	v_sub_f32_e32 v36, v38, v39
	v_add_f32_e32 v35, v35, v36
	s_delay_alu instid0(VALU_DEP_1) | instskip(NEXT) | instid1(VALU_DEP_1)
	v_add_f32_e32 v35, v48, v35
	v_cndmask_b32_e64 v35, v35, v37, s2
.LBB9_4:
	s_or_b32 exec_lo, exec_lo, s4
	s_load_b128 s[20:23], s[0:1], 0x70
	s_delay_alu instid0(VALU_DEP_1) | instskip(NEXT) | instid1(VALU_DEP_1)
	v_dual_mov_b32 v52, 0 :: v_dual_mul_f32 v39, v35, v15
	v_dual_mul_f32 v36, v35, v13 :: v_dual_mul_f32 v95, 0x3fb8aa3b, v39
	s_delay_alu instid0(VALU_DEP_1) | instskip(SKIP_1) | instid1(VALU_DEP_3)
	v_dual_mul_f32 v38, v35, v14 :: v_dual_mul_f32 v93, 0x3fb8aa3b, v36
	v_mul_f32_e32 v47, v35, v9
	v_fma_f32 v112, 0x3fb8aa3b, v39, -v95
	s_delay_alu instid0(VALU_DEP_3) | instskip(NEXT) | instid1(VALU_DEP_3)
	v_mul_f32_e32 v94, 0x3fb8aa3b, v38
	v_dual_mul_f32 v40, v35, v16 :: v_dual_mul_f32 v97, 0x3fb8aa3b, v47
	v_mul_f32_e32 v49, v35, v11
	v_rndne_f32_e32 v109, v93
	v_mul_f32_e32 v92, v35, v4
	s_delay_alu instid0(VALU_DEP_4)
	v_mul_f32_e32 v96, 0x3fb8aa3b, v40
	s_waitcnt lgkmcnt(0)
	s_mul_i32 s1, s14, s23
	s_mul_hi_u32 s2, s14, s22
	s_mul_i32 s0, s14, s22
	s_add_i32 s1, s2, s1
	v_dual_mul_f32 v48, v35, v10 :: v_dual_mul_f32 v99, 0x3fb8aa3b, v49
	s_lshl_b64 s[2:3], s[0:1], 5
	s_mul_i32 s0, s14, s7
	s_add_u32 s1, s30, s2
	s_addc_u32 s3, s31, s3
	s_ashr_i32 s2, s11, 2
	s_add_u32 s0, s18, s0
	s_addc_u32 s4, s19, 0
	s_add_u32 s16, s0, s12
	s_addc_u32 s17, s4, s13
	v_dual_mul_f32 v51, v35, v5 :: v_dual_mul_f32 v98, 0x3fb8aa3b, v48
	global_load_b32 v37, v55, s[16:17]
	v_mul_f32_e32 v50, v35, v12
	ds_load_b128 v[56:59], v52
	ds_load_b128 v[60:63], v52 offset:16
	ds_load_b128 v[64:67], v52 offset:32
	;; [unrolled: 1-line block ×7, first 2 shown]
	v_mul_f32_e32 v101, 0x3fb8aa3b, v51
	v_mul_f32_e32 v89, v35, v1
	v_fma_f32 v52, 0x3fb8aa3b, v36, -v93
	v_mul_f32_e32 v100, 0x3fb8aa3b, v50
	v_mul_f32_e32 v54, v35, v7
	v_fma_f32 v110, 0x3fb8aa3b, v38, -v94
	v_dual_mul_f32 v105, 0x3fb8aa3b, v89 :: v_dual_mul_f32 v88, v35, v8
	v_rndne_f32_e32 v111, v94
	s_delay_alu instid0(VALU_DEP_4) | instskip(SKIP_4) | instid1(VALU_DEP_4)
	v_mul_f32_e32 v103, 0x3fb8aa3b, v54
	v_mul_f32_e32 v53, v35, v6
	v_rndne_f32_e32 v121, v99
	v_mul_f32_e32 v104, 0x3fb8aa3b, v88
	v_dual_fmac_f32 v52, 0x32a5705f, v36 :: v_dual_sub_f32 v93, v93, v109
	v_dual_mul_f32 v91, v35, v3 :: v_dual_mul_f32 v102, 0x3fb8aa3b, v53
	v_mul_f32_e32 v90, v35, v2
	v_rndne_f32_e32 v113, v95
	v_rndne_f32_e32 v115, v96
	s_delay_alu instid0(VALU_DEP_4)
	v_mul_f32_e32 v107, 0x3fb8aa3b, v91
	v_fma_f32 v120, 0x3fb8aa3b, v49, -v99
	v_rndne_f32_e32 v125, v101
	v_rndne_f32_e32 v129, v103
	v_fmac_f32_e32 v110, 0x32a5705f, v38
	v_dual_sub_f32 v94, v94, v111 :: v_dual_sub_f32 v99, v99, v121
	v_add_f32_e32 v52, v93, v52
	v_dual_mul_f32 v106, 0x3fb8aa3b, v90 :: v_dual_sub_f32 v95, v95, v113
	v_fma_f32 v114, 0x3fb8aa3b, v40, -v96
	v_fma_f32 v124, 0x3fb8aa3b, v51, -v101
	;; [unrolled: 1-line block ×3, first 2 shown]
	v_rndne_f32_e32 v133, v105
	v_dual_fmac_f32 v112, 0x32a5705f, v39 :: v_dual_sub_f32 v101, v101, v125
	v_dual_sub_f32 v103, v103, v129 :: v_dual_sub_f32 v96, v96, v115
	v_add_f32_e32 v93, v94, v110
	v_exp_f32_e32 v52, v52
	v_fma_f32 v116, 0x3fb8aa3b, v47, -v97
	v_rndne_f32_e32 v117, v97
	v_mul_f32_e32 v108, 0x3fb8aa3b, v92
	v_fma_f32 v132, 0x3fb8aa3b, v89, -v105
	v_rndne_f32_e32 v137, v107
	v_dual_fmac_f32 v114, 0x32a5705f, v40 :: v_dual_sub_f32 v105, v105, v133
	v_cvt_i32_f32_e32 v109, v109
	v_add_f32_e32 v94, v95, v112
	v_exp_f32_e32 v93, v93
	v_fma_f32 v118, 0x3fb8aa3b, v48, -v98
	v_rndne_f32_e32 v119, v98
	v_fma_f32 v122, 0x3fb8aa3b, v50, -v100
	v_rndne_f32_e32 v123, v100
	;; [unrolled: 2-line block ×4, first 2 shown]
	v_fma_f32 v136, 0x3fb8aa3b, v91, -v107
	v_sub_f32_e32 v97, v97, v117
	v_fma_f32 v138, 0x3fb8aa3b, v92, -v108
	v_rndne_f32_e32 v139, v108
	v_dual_sub_f32 v107, v107, v137 :: v_dual_fmac_f32 v116, 0x32a5705f, v47
	v_add_f32_e32 v95, v96, v114
	v_cvt_i32_f32_e32 v111, v111
	v_exp_f32_e32 v94, v94
	v_ldexp_f32 v52, v52, v109
	v_cmp_ngt_f32_e64 s0, 0xc2ce8ed0, v36
	v_fmac_f32_e32 v122, 0x32a5705f, v50
	v_sub_f32_e32 v102, v102, v127
	v_fmac_f32_e32 v130, 0x32a5705f, v88
	v_sub_f32_e32 v104, v104, v131
	v_sub_f32_e32 v98, v98, v119
	v_fmac_f32_e32 v138, 0x32a5705f, v92
	v_sub_f32_e32 v108, v108, v139
	v_fmac_f32_e32 v126, 0x32a5705f, v53
	;; [unrolled: 2-line block ×3, first 2 shown]
	v_cvt_i32_f32_e32 v113, v113
	v_add_f32_e32 v96, v97, v116
	v_exp_f32_e32 v95, v95
	v_ldexp_f32 v93, v93, v111
	v_cndmask_b32_e64 v52, 0, v52, s0
	v_cmp_ngt_f32_e64 s0, 0xc2ce8ed0, v38
	v_dual_fmac_f32 v120, 0x32a5705f, v49 :: v_dual_add_f32 v97, v98, v118
	v_cvt_i32_f32_e32 v115, v115
	v_exp_f32_e32 v96, v96
	v_ldexp_f32 v94, v94, v113
	v_cndmask_b32_e64 v93, 0, v93, s0
	v_cmp_ngt_f32_e64 s0, 0xc2ce8ed0, v39
	v_fma_f32 v134, 0x3fb8aa3b, v90, -v106
	v_rndne_f32_e32 v135, v106
	v_cvt_i32_f32_e32 v117, v117
	v_add_f32_e32 v98, v99, v120
	v_exp_f32_e32 v97, v97
	v_ldexp_f32 v95, v95, v115
	v_cndmask_b32_e64 v94, 0, v94, s0
	v_cmp_ngt_f32_e64 s0, 0xc2ce8ed0, v40
	v_fmac_f32_e32 v134, 0x32a5705f, v90
	v_sub_f32_e32 v106, v106, v135
	v_fmac_f32_e32 v124, 0x32a5705f, v51
	v_cvt_i32_f32_e32 v119, v119
	v_add_f32_e32 v99, v100, v122
	v_exp_f32_e32 v98, v98
	v_ldexp_f32 v96, v96, v117
	v_cndmask_b32_e64 v95, 0, v95, s0
	v_cmp_ngt_f32_e64 s0, 0xc2ce8ed0, v47
	v_cvt_i32_f32_e32 v121, v121
	v_add_f32_e32 v100, v101, v124
	v_exp_f32_e32 v99, v99
	v_ldexp_f32 v97, v97, v119
	v_cndmask_b32_e64 v96, 0, v96, s0
	v_cmp_ngt_f32_e64 s0, 0xc2ce8ed0, v48
	v_fmac_f32_e32 v128, 0x32a5705f, v54
	v_cvt_i32_f32_e32 v123, v123
	v_add_f32_e32 v101, v102, v126
	v_exp_f32_e32 v100, v100
	v_ldexp_f32 v98, v98, v121
	v_cndmask_b32_e64 v97, 0, v97, s0
	v_cmp_ngt_f32_e64 s0, 0xc2ce8ed0, v49
	v_cvt_i32_f32_e32 v125, v125
	v_add_f32_e32 v102, v103, v128
	v_exp_f32_e32 v101, v101
	v_ldexp_f32 v99, v99, v123
	v_cndmask_b32_e64 v98, 0, v98, s0
	v_cmp_ngt_f32_e64 s0, 0xc2ce8ed0, v50
	;; [unrolled: 13-line block ×4, first 2 shown]
	v_cvt_i32_f32_e32 v135, v135
	v_exp_f32_e32 v106, v106
	v_ldexp_f32 v104, v104, v133
	v_cvt_i32_f32_e32 v137, v137
	v_cndmask_b32_e64 v103, 0, v103, s0
	v_cmp_ngt_f32_e64 s0, 0xc2ce8ed0, v89
	v_add_f32_e32 v107, v108, v138
	v_ldexp_f32 v105, v105, v135
	v_cvt_i32_f32_e32 v139, v139
	s_delay_alu instid0(VALU_DEP_4) | instskip(SKIP_3) | instid1(VALU_DEP_2)
	v_cndmask_b32_e64 v104, 0, v104, s0
	v_cmp_ngt_f32_e64 s0, 0xc2ce8ed0, v90
	v_exp_f32_e32 v107, v107
	v_ldexp_f32 v106, v106, v137
	v_cndmask_b32_e64 v105, 0, v105, s0
	v_cmp_ngt_f32_e64 s0, 0xc2ce8ed0, v91
	s_waitcnt_depctr 0xfff
	v_ldexp_f32 v107, v107, v139
	s_waitcnt vmcnt(0)
	v_mul_f32_e32 v108, v35, v37
	v_cndmask_b32_e64 v37, 0, v106, s0
	v_cmp_nlt_f32_e64 s0, 0x42b17218, v36
	s_waitcnt lgkmcnt(7)
	s_delay_alu instid0(VALU_DEP_3) | instskip(NEXT) | instid1(VALU_DEP_2)
	v_mul_f32_e32 v35, v108, v56
	v_cndmask_b32_e64 v36, 0x7f800000, v52, s0
	v_cmp_ngt_f32_e64 s0, 0xc2ce8ed0, v92
	s_delay_alu instid0(VALU_DEP_2) | instskip(NEXT) | instid1(VALU_DEP_2)
	v_fmac_f32_e32 v35, v29, v36
	v_cndmask_b32_e64 v52, 0, v107, s0
	v_cmp_nlt_f32_e64 s0, 0x42b17218, v38
	v_mul_f32_e32 v38, v108, v57
	v_mul_f32_e32 v29, v108, v58
	s_delay_alu instid0(VALU_DEP_3) | instskip(SKIP_3) | instid1(VALU_DEP_3)
	v_cndmask_b32_e64 v56, 0x7f800000, v93, s0
	v_cmp_nlt_f32_e64 s0, 0x42b17218, v39
	s_waitcnt lgkmcnt(3)
	v_fma_f32 v39, v72, v35, 0
	v_fmac_f32_e32 v38, v30, v56
	s_delay_alu instid0(VALU_DEP_3) | instskip(SKIP_1) | instid1(VALU_DEP_3)
	v_cndmask_b32_e64 v36, 0x7f800000, v94, s0
	v_cmp_nlt_f32_e64 s0, 0x42b17218, v40
	v_dual_mul_f32 v30, v108, v59 :: v_dual_fmac_f32 v39, v73, v38
	s_delay_alu instid0(VALU_DEP_3) | instskip(NEXT) | instid1(VALU_DEP_3)
	v_fmac_f32_e32 v29, v31, v36
	v_cndmask_b32_e64 v40, 0x7f800000, v95, s0
	v_cmp_nlt_f32_e64 s0, 0x42b17218, v47
	v_mul_f32_e32 v31, v108, v60
	s_delay_alu instid0(VALU_DEP_3) | instskip(NEXT) | instid1(VALU_DEP_3)
	v_dual_fmac_f32 v39, v74, v29 :: v_dual_fmac_f32 v30, v32, v40
	v_cndmask_b32_e64 v36, 0x7f800000, v96, s0
	v_cmp_nlt_f32_e64 s0, 0x42b17218, v48
	s_delay_alu instid0(VALU_DEP_3) | instskip(NEXT) | instid1(VALU_DEP_3)
	v_dual_mul_f32 v32, v108, v61 :: v_dual_fmac_f32 v39, v75, v30
	v_fmac_f32_e32 v31, v25, v36
	s_delay_alu instid0(VALU_DEP_3) | instskip(SKIP_2) | instid1(VALU_DEP_2)
	v_cndmask_b32_e64 v40, 0x7f800000, v97, s0
	v_cmp_nlt_f32_e64 s0, 0x42b17218, v49
	s_waitcnt lgkmcnt(2)
	v_dual_fmac_f32 v39, v76, v31 :: v_dual_fmac_f32 v32, v26, v40
	s_delay_alu instid0(VALU_DEP_2) | instskip(SKIP_1) | instid1(VALU_DEP_3)
	v_cndmask_b32_e64 v36, 0x7f800000, v98, s0
	v_cmp_nlt_f32_e64 s0, 0x42b17218, v50
	v_fmac_f32_e32 v39, v77, v32
	v_mul_f32_e32 v25, v108, v62
	s_delay_alu instid0(VALU_DEP_3) | instskip(SKIP_2) | instid1(VALU_DEP_4)
	v_cndmask_b32_e64 v40, 0x7f800000, v99, s0
	v_mul_f32_e32 v26, v108, v63
	v_cmp_nlt_f32_e64 s0, 0x42b17218, v51
	v_fmac_f32_e32 v25, v27, v36
	v_mul_f32_e32 v27, v108, v64
	s_delay_alu instid0(VALU_DEP_4) | instskip(NEXT) | instid1(VALU_DEP_4)
	v_fmac_f32_e32 v26, v28, v40
	v_cndmask_b32_e64 v36, 0x7f800000, v100, s0
	v_cmp_nlt_f32_e64 s0, 0x42b17218, v53
	v_fmac_f32_e32 v39, v78, v25
	s_delay_alu instid0(VALU_DEP_3) | instskip(NEXT) | instid1(VALU_DEP_3)
	v_dual_mul_f32 v28, v108, v65 :: v_dual_fmac_f32 v27, v21, v36
	v_cndmask_b32_e64 v40, 0x7f800000, v101, s0
	s_delay_alu instid0(VALU_DEP_3) | instskip(SKIP_3) | instid1(VALU_DEP_3)
	v_fmac_f32_e32 v39, v79, v26
	v_cmp_nlt_f32_e64 s0, 0x42b17218, v54
	v_mul_f32_e32 v36, v108, v66
	s_waitcnt lgkmcnt(1)
	v_dual_fmac_f32 v28, v22, v40 :: v_dual_fmac_f32 v39, v80, v27
	s_delay_alu instid0(VALU_DEP_3) | instskip(SKIP_1) | instid1(VALU_DEP_3)
	v_cndmask_b32_e64 v21, 0x7f800000, v102, s0
	v_cmp_nlt_f32_e64 s0, 0x42b17218, v88
	v_dual_mul_f32 v22, v108, v67 :: v_dual_fmac_f32 v39, v81, v28
	s_delay_alu instid0(VALU_DEP_3) | instskip(NEXT) | instid1(VALU_DEP_3)
	v_fmac_f32_e32 v36, v23, v21
	v_cndmask_b32_e64 v40, 0x7f800000, v103, s0
	v_cmp_nlt_f32_e64 s0, 0x42b17218, v89
	v_mul_f32_e32 v23, v108, v68
	s_delay_alu instid0(VALU_DEP_4) | instskip(NEXT) | instid1(VALU_DEP_4)
	v_fmac_f32_e32 v39, v82, v36
	v_fmac_f32_e32 v22, v24, v40
	s_delay_alu instid0(VALU_DEP_4) | instskip(SKIP_1) | instid1(VALU_DEP_3)
	v_cndmask_b32_e64 v21, 0x7f800000, v104, s0
	v_cmp_nlt_f32_e64 s0, 0x42b17218, v90
	v_dual_mul_f32 v24, v108, v69 :: v_dual_fmac_f32 v39, v83, v22
	s_delay_alu instid0(VALU_DEP_3) | instskip(NEXT) | instid1(VALU_DEP_3)
	v_fmac_f32_e32 v23, v17, v21
	v_cndmask_b32_e64 v40, 0x7f800000, v105, s0
	v_cmp_nlt_f32_e64 s0, 0x42b17218, v91
	v_mul_f32_e32 v21, v108, v71
	s_waitcnt lgkmcnt(0)
	s_delay_alu instid0(VALU_DEP_3) | instskip(NEXT) | instid1(VALU_DEP_3)
	v_dual_fmac_f32 v39, v84, v23 :: v_dual_fmac_f32 v24, v18, v40
	v_cndmask_b32_e64 v17, 0x7f800000, v37, s0
	v_mul_f32_e32 v37, v108, v70
	v_cmp_nlt_f32_e64 s0, 0x42b17218, v92
	s_delay_alu instid0(VALU_DEP_4) | instskip(NEXT) | instid1(VALU_DEP_3)
	v_fmac_f32_e32 v39, v85, v24
	v_fmac_f32_e32 v37, v19, v17
	s_delay_alu instid0(VALU_DEP_3) | instskip(SKIP_3) | instid1(VALU_DEP_2)
	v_cndmask_b32_e64 v18, 0x7f800000, v52, s0
	s_add_u32 s0, s1, s12
	s_addc_u32 s1, s3, s13
	v_add_co_u32 v49, s3, s16, v55
	v_fmac_f32_e32 v21, v20, v18
	v_fmac_f32_e32 v39, v86, v37
	v_add_co_u32 v47, s4, s0, v55
	v_add_co_ci_u32_e64 v50, null, s17, 0, s3
	s_delay_alu instid0(VALU_DEP_3)
	v_fmac_f32_e32 v39, v87, v21
	v_add_co_ci_u32_e64 v48, null, s1, 0, s4
	s_ashr_i32 s10, s37, 2
	s_ashr_i32 s3, s2, 31
	;; [unrolled: 1-line block ×3, first 2 shown]
	global_store_b32 v55, v39, s[0:1]
	s_waitcnt_vscnt null, 0x0
	s_barrier
	buffer_gl0_inv
	s_and_saveexec_b32 s1, vcc_lo
	s_cbranch_execz .LBB9_6
; %bb.5:
	s_lshl_b64 s[12:13], s[2:3], 2
	s_delay_alu instid0(SALU_CYCLE_1) | instskip(NEXT) | instid1(VALU_DEP_1)
	v_add_co_u32 v17, s0, v43, s12
	v_add_co_ci_u32_e64 v18, s0, s13, v44, s0
	s_lshl_b64 s[12:13], s[10:11], 2
	s_delay_alu instid0(SALU_CYCLE_1) | instskip(NEXT) | instid1(VALU_DEP_1)
	v_add_co_u32 v19, s0, v45, s12
	v_add_co_ci_u32_e64 v20, s0, s13, v46, s0
	global_load_b32 v17, v[17:18], off
	global_load_b32 v18, v[19:20], off
	s_waitcnt vmcnt(1)
	ds_store_b32 v55, v17
	s_waitcnt vmcnt(0)
	ds_store_b32 v0, v18
.LBB9_6:
	s_or_b32 exec_lo, exec_lo, s1
	s_ashr_i32 s0, s8, 2
	s_waitcnt lgkmcnt(0)
	s_ashr_i32 s1, s0, 31
	s_barrier
	s_lshl_b64 s[8:9], s[0:1], 2
	buffer_gl0_inv
	v_add_co_u32 v17, s0, v33, s8
	s_delay_alu instid0(VALU_DEP_1)
	v_add_co_ci_u32_e64 v18, s0, s9, v34, s0
	s_mov_b32 s4, exec_lo
	global_load_b32 v33, v[17:18], off
	s_waitcnt vmcnt(0)
	v_cmpx_ge_f32_e32 0x41a00000, v33
	s_cbranch_execz .LBB9_8
; %bb.7:
	v_mul_f32_e32 v19, 0x3fb8aa3b, v33
	v_cmp_ngt_f32_e64 s0, 0xc2ce8ed0, v33
	s_delay_alu instid0(VALU_DEP_2) | instskip(SKIP_1) | instid1(VALU_DEP_1)
	v_rndne_f32_e32 v20, v19
	v_fma_f32 v34, 0x3fb8aa3b, v33, -v19
	v_dual_sub_f32 v19, v19, v20 :: v_dual_fmamk_f32 v34, v33, 0x32a5705f, v34
	v_cvt_i32_f32_e32 v20, v20
	s_delay_alu instid0(VALU_DEP_2) | instskip(NEXT) | instid1(VALU_DEP_1)
	v_add_f32_e32 v19, v19, v34
	v_exp_f32_e32 v19, v19
	s_waitcnt_depctr 0xfff
	v_ldexp_f32 v19, v19, v20
	s_delay_alu instid0(VALU_DEP_1) | instskip(SKIP_1) | instid1(VALU_DEP_1)
	v_cndmask_b32_e64 v19, 0, v19, s0
	v_cmp_nlt_f32_e64 s0, 0x42b17218, v33
	v_cndmask_b32_e64 v33, 0x7f800000, v19, s0
	s_delay_alu instid0(VALU_DEP_1) | instskip(SKIP_1) | instid1(VALU_DEP_2)
	v_add_f32_e32 v34, 1.0, v33
	v_cmp_gt_f32_e64 s1, 0x33800000, v33
	v_cvt_f64_f32_e32 v[19:20], v34
	s_delay_alu instid0(VALU_DEP_1) | instskip(SKIP_1) | instid1(VALU_DEP_1)
	v_frexp_exp_i32_f64_e32 v19, v[19:20]
	v_frexp_mant_f32_e32 v20, v34
	v_cmp_gt_f32_e64 s0, 0x3f2aaaab, v20
	v_add_f32_e32 v20, -1.0, v34
	s_delay_alu instid0(VALU_DEP_1) | instskip(NEXT) | instid1(VALU_DEP_3)
	v_sub_f32_e32 v40, v20, v34
	v_subrev_co_ci_u32_e64 v19, s0, 0, v19, s0
	s_mov_b32 s0, 0x3e9b6dac
	s_delay_alu instid0(VALU_DEP_1) | instskip(SKIP_1) | instid1(VALU_DEP_2)
	v_sub_nc_u32_e32 v39, 0, v19
	v_cvt_f32_i32_e32 v19, v19
	v_ldexp_f32 v34, v34, v39
	v_sub_f32_e32 v20, v33, v20
	s_delay_alu instid0(VALU_DEP_2) | instskip(NEXT) | instid1(VALU_DEP_1)
	v_dual_add_f32 v40, 1.0, v40 :: v_dual_add_f32 v51, 1.0, v34
	v_add_f32_e32 v20, v20, v40
	s_delay_alu instid0(VALU_DEP_2) | instskip(NEXT) | instid1(VALU_DEP_2)
	v_add_f32_e32 v40, -1.0, v51
	v_ldexp_f32 v20, v20, v39
	s_delay_alu instid0(VALU_DEP_2) | instskip(NEXT) | instid1(VALU_DEP_1)
	v_dual_add_f32 v39, -1.0, v34 :: v_dual_sub_f32 v40, v34, v40
	v_add_f32_e32 v52, 1.0, v39
	s_delay_alu instid0(VALU_DEP_2) | instskip(NEXT) | instid1(VALU_DEP_2)
	v_add_f32_e32 v40, v20, v40
	v_sub_f32_e32 v34, v34, v52
	s_delay_alu instid0(VALU_DEP_2) | instskip(NEXT) | instid1(VALU_DEP_2)
	v_add_f32_e32 v52, v51, v40
	v_add_f32_e32 v20, v20, v34
	s_delay_alu instid0(VALU_DEP_2) | instskip(SKIP_1) | instid1(VALU_DEP_1)
	v_rcp_f32_e32 v34, v52
	v_sub_f32_e32 v51, v51, v52
	v_dual_add_f32 v53, v39, v20 :: v_dual_add_f32 v40, v40, v51
	s_waitcnt_depctr 0xfff
	v_dual_sub_f32 v39, v39, v53 :: v_dual_mul_f32 v54, v53, v34
	s_delay_alu instid0(VALU_DEP_1) | instskip(NEXT) | instid1(VALU_DEP_2)
	v_add_f32_e32 v20, v20, v39
	v_mul_f32_e32 v56, v52, v54
	s_delay_alu instid0(VALU_DEP_1) | instskip(NEXT) | instid1(VALU_DEP_1)
	v_fma_f32 v51, v54, v52, -v56
	v_fmac_f32_e32 v51, v54, v40
	s_delay_alu instid0(VALU_DEP_1) | instskip(NEXT) | instid1(VALU_DEP_1)
	v_add_f32_e32 v57, v56, v51
	v_sub_f32_e32 v58, v53, v57
	v_sub_f32_e32 v39, v57, v56
	s_delay_alu instid0(VALU_DEP_2) | instskip(NEXT) | instid1(VALU_DEP_2)
	v_sub_f32_e32 v53, v53, v58
	v_sub_f32_e32 v39, v39, v51
	s_delay_alu instid0(VALU_DEP_2) | instskip(NEXT) | instid1(VALU_DEP_1)
	v_sub_f32_e32 v53, v53, v57
	v_add_f32_e32 v20, v20, v53
	s_delay_alu instid0(VALU_DEP_1) | instskip(NEXT) | instid1(VALU_DEP_1)
	v_add_f32_e32 v20, v39, v20
	v_add_f32_e32 v39, v58, v20
	s_delay_alu instid0(VALU_DEP_1) | instskip(NEXT) | instid1(VALU_DEP_1)
	v_mul_f32_e32 v51, v34, v39
	v_mul_f32_e32 v53, v52, v51
	v_sub_f32_e32 v57, v58, v39
	s_delay_alu instid0(VALU_DEP_2) | instskip(NEXT) | instid1(VALU_DEP_1)
	v_fma_f32 v52, v51, v52, -v53
	v_fmac_f32_e32 v52, v51, v40
	s_delay_alu instid0(VALU_DEP_1) | instskip(NEXT) | instid1(VALU_DEP_1)
	v_add_f32_e32 v40, v53, v52
	v_dual_sub_f32 v56, v39, v40 :: v_dual_sub_f32 v53, v40, v53
	s_delay_alu instid0(VALU_DEP_1) | instskip(NEXT) | instid1(VALU_DEP_1)
	v_dual_add_f32 v20, v20, v57 :: v_dual_sub_f32 v39, v39, v56
	v_sub_f32_e32 v39, v39, v40
	s_delay_alu instid0(VALU_DEP_1) | instskip(NEXT) | instid1(VALU_DEP_4)
	v_add_f32_e32 v20, v20, v39
	v_dual_add_f32 v39, v54, v51 :: v_dual_sub_f32 v40, v53, v52
	s_delay_alu instid0(VALU_DEP_1) | instskip(NEXT) | instid1(VALU_DEP_2)
	v_add_f32_e32 v20, v40, v20
	v_sub_f32_e32 v40, v39, v54
	s_delay_alu instid0(VALU_DEP_2) | instskip(NEXT) | instid1(VALU_DEP_2)
	v_add_f32_e32 v20, v56, v20
	v_sub_f32_e32 v40, v51, v40
	s_delay_alu instid0(VALU_DEP_2) | instskip(NEXT) | instid1(VALU_DEP_1)
	v_mul_f32_e32 v20, v34, v20
	v_add_f32_e32 v20, v40, v20
	s_delay_alu instid0(VALU_DEP_1) | instskip(NEXT) | instid1(VALU_DEP_1)
	v_add_f32_e32 v34, v39, v20
	v_mul_f32_e32 v40, v34, v34
	s_delay_alu instid0(VALU_DEP_1) | instskip(SKIP_2) | instid1(VALU_DEP_3)
	v_fmaak_f32 v51, s0, v40, 0x3ecc95a3
	v_mul_f32_e32 v52, v34, v40
	v_cmp_eq_f32_e64 s0, 0x7f800000, v33
	v_fmaak_f32 v40, v40, v51, 0x3f2aaada
	v_ldexp_f32 v51, v34, 1
	v_sub_f32_e32 v34, v34, v39
	s_delay_alu instid0(VALU_DEP_4) | instskip(NEXT) | instid1(VALU_DEP_3)
	s_or_b32 s0, s1, s0
	v_mul_f32_e32 v40, v52, v40
	s_delay_alu instid0(VALU_DEP_1) | instskip(NEXT) | instid1(VALU_DEP_1)
	v_dual_sub_f32 v20, v20, v34 :: v_dual_add_f32 v39, v51, v40
	v_ldexp_f32 v20, v20, 1
	s_delay_alu instid0(VALU_DEP_2) | instskip(NEXT) | instid1(VALU_DEP_1)
	v_sub_f32_e32 v34, v39, v51
	v_sub_f32_e32 v34, v40, v34
	s_delay_alu instid0(VALU_DEP_1) | instskip(NEXT) | instid1(VALU_DEP_1)
	v_add_f32_e32 v20, v20, v34
	v_add_f32_e32 v40, v39, v20
	v_mul_f32_e32 v52, 0x3f317218, v19
	s_delay_alu instid0(VALU_DEP_2) | instskip(NEXT) | instid1(VALU_DEP_2)
	v_sub_f32_e32 v39, v40, v39
	v_fma_f32 v51, 0x3f317218, v19, -v52
	s_delay_alu instid0(VALU_DEP_1) | instskip(NEXT) | instid1(VALU_DEP_1)
	v_dual_sub_f32 v20, v20, v39 :: v_dual_fmamk_f32 v19, v19, 0xb102e308, v51
	v_add_f32_e32 v34, v52, v19
	s_delay_alu instid0(VALU_DEP_1) | instskip(NEXT) | instid1(VALU_DEP_1)
	v_add_f32_e32 v51, v34, v40
	v_dual_sub_f32 v52, v34, v52 :: v_dual_sub_f32 v53, v51, v34
	s_delay_alu instid0(VALU_DEP_1) | instskip(NEXT) | instid1(VALU_DEP_2)
	v_sub_f32_e32 v19, v19, v52
	v_sub_f32_e32 v54, v51, v53
	s_delay_alu instid0(VALU_DEP_2) | instskip(NEXT) | instid1(VALU_DEP_2)
	v_dual_sub_f32 v39, v40, v53 :: v_dual_add_f32 v40, v19, v20
	v_sub_f32_e32 v34, v34, v54
	s_delay_alu instid0(VALU_DEP_1) | instskip(NEXT) | instid1(VALU_DEP_1)
	v_dual_add_f32 v34, v39, v34 :: v_dual_sub_f32 v39, v40, v19
	v_add_f32_e32 v34, v40, v34
	s_delay_alu instid0(VALU_DEP_2) | instskip(SKIP_1) | instid1(VALU_DEP_3)
	v_sub_f32_e32 v40, v40, v39
	v_sub_f32_e32 v20, v20, v39
	v_add_f32_e32 v52, v51, v34
	s_delay_alu instid0(VALU_DEP_3) | instskip(NEXT) | instid1(VALU_DEP_2)
	v_sub_f32_e32 v19, v19, v40
	v_sub_f32_e32 v39, v52, v51
	s_delay_alu instid0(VALU_DEP_2) | instskip(NEXT) | instid1(VALU_DEP_2)
	v_add_f32_e32 v19, v20, v19
	v_sub_f32_e32 v20, v34, v39
	s_delay_alu instid0(VALU_DEP_1) | instskip(NEXT) | instid1(VALU_DEP_1)
	v_add_f32_e32 v19, v19, v20
	v_add_f32_e32 v19, v52, v19
	s_delay_alu instid0(VALU_DEP_1)
	v_cndmask_b32_e64 v33, v19, v33, s0
.LBB9_8:
	s_or_b32 exec_lo, exec_lo, s4
	s_ashr_i32 s6, s6, 2
	s_delay_alu instid0(VALU_DEP_1)
	v_dual_mov_b32 v54, 0 :: v_dual_mul_f32 v51, v33, v15
	s_ashr_i32 s7, s6, 31
	v_mul_f32_e32 v34, v33, v13
	s_lshl_b64 s[16:17], s[6:7], 2
	v_mul_f32_e32 v53, v33, v9
	v_add_co_u32 v19, s0, v49, s16
	s_delay_alu instid0(VALU_DEP_1) | instskip(NEXT) | instid1(VALU_DEP_3)
	v_add_co_ci_u32_e64 v20, s0, s17, v50, s0
	v_dual_mul_f32 v40, v33, v14 :: v_dual_mul_f32 v103, 0x3fb8aa3b, v53
	v_mul_f32_e32 v101, 0x3fb8aa3b, v51
	global_load_b32 v39, v[19:20], off
	v_dual_mul_f32 v52, v33, v16 :: v_dual_mul_f32 v71, 0x3fb8aa3b, v34
	v_dual_mul_f32 v69, v33, v11 :: v_dual_mul_f32 v100, 0x3fb8aa3b, v40
	ds_load_b128 v[57:60], v54
	ds_load_b128 v[61:64], v54 offset:16
	ds_load_b128 v[65:68], v54 offset:32
	;; [unrolled: 1-line block ×3, first 2 shown]
	v_mul_f32_e32 v102, 0x3fb8aa3b, v52
	v_dual_mul_f32 v56, v33, v10 :: v_dual_mul_f32 v105, 0x3fb8aa3b, v69
	v_mul_f32_e32 v93, v33, v6
	ds_load_b128 v[76:79], v54 offset:64
	ds_load_b128 v[80:83], v54 offset:80
	;; [unrolled: 1-line block ×4, first 2 shown]
	v_dual_mul_f32 v104, 0x3fb8aa3b, v56 :: v_dual_mul_f32 v97, v33, v2
	v_mul_f32_e32 v108, 0x3fb8aa3b, v93
	v_fma_f32 v54, 0x3fb8aa3b, v34, -v71
	v_rndne_f32_e32 v115, v71
	v_fma_f32 v116, 0x3fb8aa3b, v40, -v100
	v_rndne_f32_e32 v117, v100
	v_mul_f32_e32 v112, 0x3fb8aa3b, v97
	v_rndne_f32_e32 v119, v101
	v_sub_f32_e32 v71, v71, v115
	v_rndne_f32_e32 v123, v103
	v_rndne_f32_e32 v127, v105
	v_fmac_f32_e32 v54, 0x32a5705f, v34
	v_fmac_f32_e32 v116, 0x32a5705f, v40
	v_sub_f32_e32 v100, v100, v117
	v_fma_f32 v118, 0x3fb8aa3b, v51, -v101
	v_fma_f32 v122, 0x3fb8aa3b, v53, -v103
	;; [unrolled: 1-line block ×3, first 2 shown]
	v_sub_f32_e32 v105, v105, v127
	v_sub_f32_e32 v101, v101, v119
	;; [unrolled: 1-line block ×3, first 2 shown]
	v_mul_f32_e32 v98, v33, v3
	v_dual_add_f32 v54, v71, v54 :: v_dual_add_f32 v71, v100, v116
	v_mul_f32_e32 v96, v33, v1
	v_fma_f32 v124, 0x3fb8aa3b, v56, -v104
	s_delay_alu instid0(VALU_DEP_4) | instskip(SKIP_1) | instid1(VALU_DEP_4)
	v_dual_mul_f32 v113, 0x3fb8aa3b, v98 :: v_dual_mul_f32 v92, v33, v5
	v_rndne_f32_e32 v125, v104
	v_dual_mul_f32 v111, 0x3fb8aa3b, v96 :: v_dual_mul_f32 v94, v33, v7
	v_fma_f32 v140, 0x3fb8aa3b, v97, -v112
	s_delay_alu instid0(VALU_DEP_4)
	v_mul_f32_e32 v107, 0x3fb8aa3b, v92
	v_mul_f32_e32 v70, v33, v12
	v_rndne_f32_e32 v141, v112
	v_mul_f32_e32 v109, 0x3fb8aa3b, v94
	v_mul_f32_e32 v95, v33, v8
	v_fma_f32 v130, 0x3fb8aa3b, v92, -v107
	v_dual_mul_f32 v106, 0x3fb8aa3b, v70 :: v_dual_mul_f32 v99, v33, v4
	s_delay_alu instid0(VALU_DEP_4) | instskip(NEXT) | instid1(VALU_DEP_4)
	v_fma_f32 v134, 0x3fb8aa3b, v94, -v109
	v_mul_f32_e32 v110, 0x3fb8aa3b, v95
	v_rndne_f32_e32 v143, v113
	s_delay_alu instid0(VALU_DEP_4)
	v_fma_f32 v128, 0x3fb8aa3b, v70, -v106
	v_rndne_f32_e32 v129, v106
	v_fmac_f32_e32 v130, 0x32a5705f, v92
	v_fma_f32 v136, 0x3fb8aa3b, v95, -v110
	v_rndne_f32_e32 v137, v110
	v_fma_f32 v120, 0x3fb8aa3b, v52, -v102
	v_rndne_f32_e32 v121, v102
	v_fma_f32 v142, 0x3fb8aa3b, v98, -v113
	v_dual_fmac_f32 v124, 0x32a5705f, v56 :: v_dual_sub_f32 v113, v113, v143
	v_fmac_f32_e32 v140, 0x32a5705f, v97
	v_sub_f32_e32 v112, v112, v141
	v_sub_f32_e32 v106, v106, v129
	v_exp_f32_e32 v54, v54
	v_rndne_f32_e32 v131, v107
	v_rndne_f32_e32 v135, v109
	v_fmac_f32_e32 v120, 0x32a5705f, v52
	v_sub_f32_e32 v102, v102, v121
	v_cvt_i32_f32_e32 v115, v115
	v_exp_f32_e32 v71, v71
	v_sub_f32_e32 v109, v109, v135
	v_rndne_f32_e32 v139, v111
	v_dual_fmac_f32 v122, 0x32a5705f, v53 :: v_dual_sub_f32 v107, v107, v131
	v_mul_f32_e32 v114, 0x3fb8aa3b, v99
	v_cvt_i32_f32_e32 v117, v117
	v_ldexp_f32 v54, v54, v115
	v_cmp_ngt_f32_e64 s0, 0xc2ce8ed0, v34
	v_fma_f32 v132, 0x3fb8aa3b, v93, -v108
	v_rndne_f32_e32 v133, v108
	v_fma_f32 v138, 0x3fb8aa3b, v96, -v111
	v_sub_f32_e32 v111, v111, v139
	v_cvt_i32_f32_e32 v119, v119
	v_ldexp_f32 v71, v71, v117
	v_cndmask_b32_e64 v54, 0, v54, s0
	v_cmp_ngt_f32_e64 s0, 0xc2ce8ed0, v40
	v_cvt_i32_f32_e32 v121, v121
	v_cvt_i32_f32_e32 v123, v123
	;; [unrolled: 1-line block ×4, first 2 shown]
	v_cndmask_b32_e64 v71, 0, v71, s0
	v_cmp_ngt_f32_e64 s0, 0xc2ce8ed0, v51
	v_cvt_i32_f32_e32 v131, v131
	v_fmac_f32_e32 v138, 0x32a5705f, v96
	v_cvt_i32_f32_e32 v135, v135
	v_fmac_f32_e32 v142, 0x32a5705f, v98
	v_cvt_i32_f32_e32 v139, v139
	v_cvt_i32_f32_e32 v141, v141
	;; [unrolled: 1-line block ×3, first 2 shown]
	s_bfe_i64 s[12:13], s[22:23], 0x200000
	s_mov_b32 s24, 0
	s_lshl_b64 s[18:19], s[12:13], 2
	s_waitcnt vmcnt(0)
	v_dual_mul_f32 v33, v33, v39 :: v_dual_fmac_f32 v134, 0x32a5705f, v94
	v_sub_f32_e32 v110, v110, v137
	v_sub_f32_e32 v108, v108, v133
	v_cvt_i32_f32_e32 v133, v133
	s_waitcnt lgkmcnt(7)
	v_dual_mul_f32 v57, v33, v57 :: v_dual_fmac_f32 v136, 0x32a5705f, v95
	v_fmac_f32_e32 v128, 0x32a5705f, v70
	v_sub_f32_e32 v104, v104, v125
	v_fmac_f32_e32 v118, 0x32a5705f, v51
	v_cvt_i32_f32_e32 v125, v125
	v_cvt_i32_f32_e32 v137, v137
	s_delay_alu instid0(VALU_DEP_3) | instskip(SKIP_3) | instid1(VALU_DEP_4)
	v_dual_add_f32 v100, v101, v118 :: v_dual_add_f32 v101, v102, v120
	v_fma_f32 v144, 0x3fb8aa3b, v99, -v114
	v_rndne_f32_e32 v145, v114
	v_add_f32_e32 v102, v103, v122
	v_exp_f32_e32 v100, v100
	v_exp_f32_e32 v101, v101
	v_fmac_f32_e32 v144, 0x32a5705f, v99
	v_sub_f32_e32 v114, v114, v145
	v_fmac_f32_e32 v132, 0x32a5705f, v93
	v_dual_fmac_f32 v126, 0x32a5705f, v69 :: v_dual_add_f32 v103, v104, v124
	v_exp_f32_e32 v102, v102
	v_cvt_i32_f32_e32 v145, v145
	s_delay_alu instid0(TRANS32_DEP_3) | instskip(NEXT) | instid1(VALU_DEP_3)
	v_ldexp_f32 v100, v100, v119
	v_add_f32_e32 v104, v105, v126
	v_exp_f32_e32 v103, v103
	v_ldexp_f32 v101, v101, v121
	v_add_f32_e32 v105, v106, v128
	v_cndmask_b32_e64 v100, 0, v100, s0
	v_cmp_ngt_f32_e64 s0, 0xc2ce8ed0, v52
	v_exp_f32_e32 v104, v104
	v_ldexp_f32 v102, v102, v123
	v_add_f32_e32 v106, v107, v130
	v_exp_f32_e32 v105, v105
	v_cndmask_b32_e64 v101, 0, v101, s0
	v_cmp_ngt_f32_e64 s0, 0xc2ce8ed0, v53
	v_ldexp_f32 v103, v103, v125
	v_add_f32_e32 v107, v108, v132
	v_exp_f32_e32 v106, v106
	v_add_f32_e32 v108, v109, v134
	v_cndmask_b32_e64 v102, 0, v102, s0
	v_cmp_ngt_f32_e64 s0, 0xc2ce8ed0, v56
	v_ldexp_f32 v104, v104, v127
	v_exp_f32_e32 v107, v107
	v_ldexp_f32 v105, v105, v129
	v_add_f32_e32 v109, v110, v136
	v_cndmask_b32_e64 v103, 0, v103, s0
	v_cmp_ngt_f32_e64 s0, 0xc2ce8ed0, v69
	v_exp_f32_e32 v108, v108
	v_ldexp_f32 v106, v106, v131
	v_add_f32_e32 v110, v111, v138
	v_exp_f32_e32 v109, v109
	v_cndmask_b32_e64 v104, 0, v104, s0
	v_cmp_ngt_f32_e64 s0, 0xc2ce8ed0, v70
	v_ldexp_f32 v107, v107, v133
	v_add_f32_e32 v111, v112, v140
	v_exp_f32_e32 v110, v110
	v_add_f32_e32 v112, v113, v142
	v_cndmask_b32_e64 v105, 0, v105, s0
	v_cmp_ngt_f32_e64 s0, 0xc2ce8ed0, v92
	v_ldexp_f32 v108, v108, v135
	v_exp_f32_e32 v111, v111
	v_ldexp_f32 v109, v109, v137
	v_exp_f32_e32 v112, v112
	v_cndmask_b32_e64 v106, 0, v106, s0
	v_cmp_ngt_f32_e64 s0, 0xc2ce8ed0, v93
	v_ldexp_f32 v110, v110, v139
	v_add_f32_e32 v113, v114, v144
	s_delay_alu instid0(VALU_DEP_3) | instskip(SKIP_1) | instid1(TRANS32_DEP_2)
	v_cndmask_b32_e64 v107, 0, v107, s0
	v_cmp_ngt_f32_e64 s0, 0xc2ce8ed0, v94
	v_ldexp_f32 v111, v111, v141
	s_delay_alu instid0(VALU_DEP_4) | instskip(NEXT) | instid1(TRANS32_DEP_2)
	v_exp_f32_e32 v113, v113
	v_ldexp_f32 v112, v112, v143
	s_delay_alu instid0(VALU_DEP_3) | instskip(SKIP_1) | instid1(VALU_DEP_1)
	v_cndmask_b32_e64 v108, 0, v108, s0
	v_cmp_ngt_f32_e64 s0, 0xc2ce8ed0, v95
	v_cndmask_b32_e64 v109, 0, v109, s0
	v_cmp_ngt_f32_e64 s0, 0xc2ce8ed0, v96
	s_waitcnt_depctr 0xfff
	v_ldexp_f32 v113, v113, v145
	v_cndmask_b32_e64 v110, 0, v110, s0
	v_cmp_ngt_f32_e64 s0, 0xc2ce8ed0, v97
	s_delay_alu instid0(VALU_DEP_1) | instskip(SKIP_1) | instid1(VALU_DEP_1)
	v_cndmask_b32_e64 v111, 0, v111, s0
	v_cmp_ngt_f32_e64 s0, 0xc2ce8ed0, v98
	v_cndmask_b32_e64 v39, 0, v112, s0
	v_cmp_nlt_f32_e64 s0, 0x42b17218, v34
	s_delay_alu instid0(VALU_DEP_1) | instskip(SKIP_1) | instid1(VALU_DEP_2)
	v_cndmask_b32_e64 v34, 0x7f800000, v54, s0
	v_cmp_ngt_f32_e64 s0, 0xc2ce8ed0, v99
	v_fmac_f32_e32 v57, v35, v34
	s_delay_alu instid0(VALU_DEP_2) | instskip(SKIP_2) | instid1(VALU_DEP_3)
	v_cndmask_b32_e64 v54, 0, v113, s0
	v_cmp_nlt_f32_e64 s0, 0x42b17218, v40
	s_waitcnt lgkmcnt(3)
	v_fma_f32 v35, v76, v57, 0
	s_delay_alu instid0(VALU_DEP_2)
	v_cndmask_b32_e64 v40, 0x7f800000, v71, s0
	v_cmp_nlt_f32_e64 s0, 0x42b17218, v51
	v_mul_f32_e32 v71, v33, v58
	v_mul_f32_e32 v58, v33, v59
	;; [unrolled: 1-line block ×4, first 2 shown]
	v_cndmask_b32_e64 v34, 0x7f800000, v100, s0
	v_cmp_nlt_f32_e64 s0, 0x42b17218, v52
	v_fmac_f32_e32 v71, v38, v40
	v_mul_f32_e32 v61, v33, v62
	v_mul_f32_e32 v62, v33, v63
	v_fmac_f32_e32 v58, v29, v34
	v_cndmask_b32_e64 v38, 0x7f800000, v101, s0
	v_cmp_nlt_f32_e64 s0, 0x42b17218, v53
	v_fmac_f32_e32 v35, v77, v71
	v_mul_f32_e32 v63, v33, v64
	s_delay_alu instid0(VALU_DEP_4) | instskip(NEXT) | instid1(VALU_DEP_4)
	v_dual_mul_f32 v64, v33, v65 :: v_dual_fmac_f32 v59, v30, v38
	v_cndmask_b32_e64 v29, 0x7f800000, v102, s0
	v_cmp_nlt_f32_e64 s0, 0x42b17218, v56
	v_fmac_f32_e32 v35, v78, v58
	v_mul_f32_e32 v65, v33, v66
	v_mul_f32_e32 v56, v33, v75
	v_fmac_f32_e32 v60, v31, v29
	v_cndmask_b32_e64 v30, 0x7f800000, v103, s0
	v_cmp_nlt_f32_e64 s0, 0x42b17218, v69
	v_mul_f32_e32 v69, v33, v73
	v_mul_f32_e32 v66, v33, v67
	;; [unrolled: 1-line block ×3, first 2 shown]
	v_fmac_f32_e32 v61, v32, v30
	v_cndmask_b32_e64 v29, 0x7f800000, v104, s0
	v_cmp_nlt_f32_e64 s0, 0x42b17218, v70
	v_dual_fmac_f32 v35, v79, v59 :: v_dual_mul_f32 v68, v33, v72
	v_mul_f32_e32 v70, v33, v74
	s_delay_alu instid0(VALU_DEP_4) | instskip(NEXT) | instid1(VALU_DEP_4)
	v_fmac_f32_e32 v62, v25, v29
	v_cndmask_b32_e64 v30, 0x7f800000, v105, s0
	v_cmp_nlt_f32_e64 s0, 0x42b17218, v92
	s_waitcnt lgkmcnt(2)
	v_fmac_f32_e32 v35, v80, v60
	s_delay_alu instid0(VALU_DEP_3) | instskip(NEXT) | instid1(VALU_DEP_3)
	v_fmac_f32_e32 v63, v26, v30
	v_cndmask_b32_e64 v25, 0x7f800000, v106, s0
	v_cmp_nlt_f32_e64 s0, 0x42b17218, v93
	s_delay_alu instid0(VALU_DEP_4) | instskip(NEXT) | instid1(VALU_DEP_3)
	v_fmac_f32_e32 v35, v81, v61
	v_fmac_f32_e32 v64, v27, v25
	s_delay_alu instid0(VALU_DEP_3) | instskip(SKIP_1) | instid1(VALU_DEP_2)
	v_cndmask_b32_e64 v26, 0x7f800000, v107, s0
	v_cmp_nlt_f32_e64 s0, 0x42b17218, v94
	v_fmac_f32_e32 v65, v28, v26
	s_delay_alu instid0(VALU_DEP_2) | instskip(SKIP_1) | instid1(VALU_DEP_2)
	v_cndmask_b32_e64 v25, 0x7f800000, v108, s0
	v_cmp_nlt_f32_e64 s0, 0x42b17218, v95
	v_fmac_f32_e32 v66, v36, v25
	s_delay_alu instid0(VALU_DEP_2) | instskip(SKIP_1) | instid1(VALU_DEP_2)
	v_cndmask_b32_e64 v26, 0x7f800000, v109, s0
	v_cmp_nlt_f32_e64 s0, 0x42b17218, v96
	v_fmac_f32_e32 v67, v22, v26
	v_fmac_f32_e32 v35, v82, v62
	s_delay_alu instid0(VALU_DEP_3) | instskip(SKIP_1) | instid1(VALU_DEP_3)
	v_cndmask_b32_e64 v25, 0x7f800000, v110, s0
	v_cmp_nlt_f32_e64 s0, 0x42b17218, v97
	v_fmac_f32_e32 v35, v83, v63
	s_delay_alu instid0(VALU_DEP_3) | instskip(NEXT) | instid1(VALU_DEP_3)
	v_fmac_f32_e32 v68, v23, v25
	v_cndmask_b32_e64 v22, 0x7f800000, v111, s0
	v_cmp_nlt_f32_e64 s0, 0x42b17218, v98
	s_waitcnt lgkmcnt(1)
	v_fmac_f32_e32 v35, v84, v64
	s_delay_alu instid0(VALU_DEP_3) | instskip(NEXT) | instid1(VALU_DEP_3)
	v_fmac_f32_e32 v69, v24, v22
	v_cndmask_b32_e64 v23, 0x7f800000, v39, s0
	v_cmp_nlt_f32_e64 s0, 0x42b17218, v99
	s_delay_alu instid0(VALU_DEP_4) | instskip(NEXT) | instid1(VALU_DEP_3)
	v_fmac_f32_e32 v35, v85, v65
	v_fmac_f32_e32 v70, v37, v23
	s_delay_alu instid0(VALU_DEP_3) | instskip(NEXT) | instid1(VALU_DEP_3)
	v_cndmask_b32_e64 v22, 0x7f800000, v54, s0
	v_fmac_f32_e32 v35, v86, v66
	s_delay_alu instid0(VALU_DEP_1) | instskip(SKIP_1) | instid1(VALU_DEP_1)
	v_dual_fmac_f32 v56, v21, v22 :: v_dual_fmac_f32 v35, v87, v67
	v_add_co_u32 v21, s0, v47, s18
	v_add_co_ci_u32_e64 v22, s0, s19, v48, s0
	s_waitcnt lgkmcnt(0)
	s_delay_alu instid0(VALU_DEP_3) | instskip(NEXT) | instid1(VALU_DEP_1)
	v_fmac_f32_e32 v35, v88, v68
	v_fmac_f32_e32 v35, v89, v69
	s_delay_alu instid0(VALU_DEP_1) | instskip(NEXT) | instid1(VALU_DEP_1)
	v_fmac_f32_e32 v35, v90, v70
	v_fmac_f32_e32 v35, v91, v56
	global_store_b32 v[21:22], v35, off
	s_waitcnt_vscnt null, 0x0
	s_barrier
	buffer_gl0_inv
	s_and_saveexec_b32 s1, vcc_lo
	s_cbranch_execz .LBB9_10
; %bb.9:
	s_lshl_b64 s[26:27], s[2:3], 3
	s_delay_alu instid0(SALU_CYCLE_1) | instskip(NEXT) | instid1(VALU_DEP_1)
	v_add_co_u32 v21, s0, v43, s26
	v_add_co_ci_u32_e64 v22, s0, s27, v44, s0
	s_lshl_b64 s[26:27], s[10:11], 3
	s_delay_alu instid0(SALU_CYCLE_1) | instskip(NEXT) | instid1(VALU_DEP_1)
	v_add_co_u32 v23, s0, v45, s26
	v_add_co_ci_u32_e64 v24, s0, s27, v46, s0
	global_load_b32 v21, v[21:22], off
	global_load_b32 v22, v[23:24], off
	s_waitcnt vmcnt(1)
	ds_store_b32 v55, v21
	s_waitcnt vmcnt(0)
	ds_store_b32 v0, v22
.LBB9_10:
	s_or_b32 exec_lo, exec_lo, s1
	v_add_co_u32 v51, s0, v17, s8
	s_delay_alu instid0(VALU_DEP_1)
	v_add_co_ci_u32_e64 v52, s0, s9, v18, s0
	s_waitcnt lgkmcnt(0)
	s_barrier
	buffer_gl0_inv
	global_load_b32 v72, v[51:52], off
	s_mov_b32 s25, s22
	s_mov_b32 s4, exec_lo
	s_waitcnt vmcnt(0)
	v_cmpx_ge_f32_e32 0x41a00000, v72
	s_cbranch_execz .LBB9_12
; %bb.11:
	v_mul_f32_e32 v17, 0x3fb8aa3b, v72
	v_cmp_ngt_f32_e64 s0, 0xc2ce8ed0, v72
	s_delay_alu instid0(VALU_DEP_2) | instskip(SKIP_1) | instid1(VALU_DEP_2)
	v_rndne_f32_e32 v18, v17
	v_fma_f32 v21, 0x3fb8aa3b, v72, -v17
	v_sub_f32_e32 v17, v17, v18
	s_delay_alu instid0(VALU_DEP_2) | instskip(SKIP_1) | instid1(VALU_DEP_2)
	v_fmamk_f32 v21, v72, 0x32a5705f, v21
	v_cvt_i32_f32_e32 v18, v18
	v_add_f32_e32 v17, v17, v21
	s_delay_alu instid0(VALU_DEP_1) | instskip(SKIP_2) | instid1(VALU_DEP_1)
	v_exp_f32_e32 v17, v17
	s_waitcnt_depctr 0xfff
	v_ldexp_f32 v17, v17, v18
	v_cndmask_b32_e64 v17, 0, v17, s0
	v_cmp_nlt_f32_e64 s0, 0x42b17218, v72
	s_delay_alu instid0(VALU_DEP_1) | instskip(NEXT) | instid1(VALU_DEP_1)
	v_cndmask_b32_e64 v21, 0x7f800000, v17, s0
	v_add_f32_e32 v22, 1.0, v21
	v_cmp_gt_f32_e64 s1, 0x33800000, v21
	s_delay_alu instid0(VALU_DEP_2) | instskip(NEXT) | instid1(VALU_DEP_1)
	v_cvt_f64_f32_e32 v[17:18], v22
	v_frexp_exp_i32_f64_e32 v17, v[17:18]
	v_frexp_mant_f32_e32 v18, v22
	s_delay_alu instid0(VALU_DEP_1) | instskip(SKIP_1) | instid1(VALU_DEP_1)
	v_cmp_gt_f32_e64 s0, 0x3f2aaaab, v18
	v_add_f32_e32 v18, -1.0, v22
	v_sub_f32_e32 v24, v18, v22
	v_sub_f32_e32 v18, v21, v18
	s_delay_alu instid0(VALU_DEP_2) | instskip(NEXT) | instid1(VALU_DEP_1)
	v_add_f32_e32 v24, 1.0, v24
	v_add_f32_e32 v18, v18, v24
	v_subrev_co_ci_u32_e64 v17, s0, 0, v17, s0
	s_mov_b32 s0, 0x3e9b6dac
	s_delay_alu instid0(VALU_DEP_1) | instskip(SKIP_1) | instid1(VALU_DEP_2)
	v_sub_nc_u32_e32 v23, 0, v17
	v_cvt_f32_i32_e32 v17, v17
	v_ldexp_f32 v22, v22, v23
	v_ldexp_f32 v18, v18, v23
	s_delay_alu instid0(VALU_DEP_2) | instskip(NEXT) | instid1(VALU_DEP_1)
	v_add_f32_e32 v25, 1.0, v22
	v_dual_add_f32 v23, -1.0, v22 :: v_dual_add_f32 v24, -1.0, v25
	s_delay_alu instid0(VALU_DEP_1) | instskip(NEXT) | instid1(VALU_DEP_2)
	v_add_f32_e32 v26, 1.0, v23
	v_sub_f32_e32 v24, v22, v24
	s_delay_alu instid0(VALU_DEP_2) | instskip(NEXT) | instid1(VALU_DEP_2)
	v_sub_f32_e32 v22, v22, v26
	v_add_f32_e32 v24, v18, v24
	s_delay_alu instid0(VALU_DEP_2) | instskip(NEXT) | instid1(VALU_DEP_1)
	v_add_f32_e32 v18, v18, v22
	v_dual_add_f32 v27, v23, v18 :: v_dual_add_f32 v26, v25, v24
	s_delay_alu instid0(VALU_DEP_1) | instskip(NEXT) | instid1(VALU_DEP_2)
	v_sub_f32_e32 v23, v23, v27
	v_rcp_f32_e32 v22, v26
	v_sub_f32_e32 v25, v25, v26
	s_delay_alu instid0(VALU_DEP_1) | instskip(SKIP_2) | instid1(VALU_DEP_1)
	v_add_f32_e32 v24, v24, v25
	s_waitcnt_depctr 0xfff
	v_mul_f32_e32 v28, v27, v22
	v_mul_f32_e32 v29, v26, v28
	s_delay_alu instid0(VALU_DEP_1) | instskip(NEXT) | instid1(VALU_DEP_1)
	v_fma_f32 v25, v28, v26, -v29
	v_fmac_f32_e32 v25, v28, v24
	s_delay_alu instid0(VALU_DEP_1) | instskip(NEXT) | instid1(VALU_DEP_1)
	v_add_f32_e32 v30, v29, v25
	v_sub_f32_e32 v31, v27, v30
	s_delay_alu instid0(VALU_DEP_1) | instskip(SKIP_2) | instid1(VALU_DEP_3)
	v_sub_f32_e32 v27, v27, v31
	v_add_f32_e32 v18, v18, v23
	v_sub_f32_e32 v23, v30, v29
	v_sub_f32_e32 v27, v27, v30
	s_delay_alu instid0(VALU_DEP_1) | instskip(NEXT) | instid1(VALU_DEP_1)
	v_dual_sub_f32 v23, v23, v25 :: v_dual_add_f32 v18, v18, v27
	v_add_f32_e32 v18, v23, v18
	s_delay_alu instid0(VALU_DEP_1) | instskip(NEXT) | instid1(VALU_DEP_1)
	v_add_f32_e32 v23, v31, v18
	v_mul_f32_e32 v25, v22, v23
	s_delay_alu instid0(VALU_DEP_1) | instskip(NEXT) | instid1(VALU_DEP_1)
	v_dual_sub_f32 v30, v31, v23 :: v_dual_mul_f32 v27, v26, v25
	v_add_f32_e32 v18, v18, v30
	s_delay_alu instid0(VALU_DEP_2) | instskip(NEXT) | instid1(VALU_DEP_1)
	v_fma_f32 v26, v25, v26, -v27
	v_fmac_f32_e32 v26, v25, v24
	s_delay_alu instid0(VALU_DEP_1) | instskip(NEXT) | instid1(VALU_DEP_1)
	v_add_f32_e32 v24, v27, v26
	v_sub_f32_e32 v29, v23, v24
	s_delay_alu instid0(VALU_DEP_1) | instskip(NEXT) | instid1(VALU_DEP_1)
	v_sub_f32_e32 v23, v23, v29
	v_sub_f32_e32 v23, v23, v24
	s_delay_alu instid0(VALU_DEP_1) | instskip(SKIP_1) | instid1(VALU_DEP_1)
	v_dual_add_f32 v18, v18, v23 :: v_dual_add_f32 v23, v28, v25
	v_sub_f32_e32 v27, v24, v27
	v_sub_f32_e32 v24, v27, v26
	s_delay_alu instid0(VALU_DEP_1) | instskip(NEXT) | instid1(VALU_DEP_4)
	v_add_f32_e32 v18, v24, v18
	v_sub_f32_e32 v24, v23, v28
	s_delay_alu instid0(VALU_DEP_2) | instskip(NEXT) | instid1(VALU_DEP_2)
	v_add_f32_e32 v18, v29, v18
	v_sub_f32_e32 v24, v25, v24
	s_delay_alu instid0(VALU_DEP_2) | instskip(NEXT) | instid1(VALU_DEP_1)
	v_mul_f32_e32 v18, v22, v18
	v_add_f32_e32 v18, v24, v18
	s_delay_alu instid0(VALU_DEP_1) | instskip(NEXT) | instid1(VALU_DEP_1)
	v_add_f32_e32 v22, v23, v18
	v_mul_f32_e32 v24, v22, v22
	s_delay_alu instid0(VALU_DEP_1) | instskip(SKIP_2) | instid1(VALU_DEP_3)
	v_fmaak_f32 v25, s0, v24, 0x3ecc95a3
	v_mul_f32_e32 v26, v22, v24
	v_cmp_eq_f32_e64 s0, 0x7f800000, v21
	v_fmaak_f32 v24, v24, v25, 0x3f2aaada
	v_ldexp_f32 v25, v22, 1
	v_sub_f32_e32 v22, v22, v23
	s_delay_alu instid0(VALU_DEP_4) | instskip(NEXT) | instid1(VALU_DEP_3)
	s_or_b32 s0, s1, s0
	v_mul_f32_e32 v24, v26, v24
	v_mul_f32_e32 v26, 0x3f317218, v17
	s_delay_alu instid0(VALU_DEP_2) | instskip(NEXT) | instid1(VALU_DEP_1)
	v_dual_sub_f32 v18, v18, v22 :: v_dual_add_f32 v23, v25, v24
	v_ldexp_f32 v18, v18, 1
	s_delay_alu instid0(VALU_DEP_2) | instskip(NEXT) | instid1(VALU_DEP_4)
	v_sub_f32_e32 v22, v23, v25
	v_fma_f32 v25, 0x3f317218, v17, -v26
	s_delay_alu instid0(VALU_DEP_1) | instskip(NEXT) | instid1(VALU_DEP_1)
	v_dual_sub_f32 v22, v24, v22 :: v_dual_fmamk_f32 v17, v17, 0xb102e308, v25
	v_add_f32_e32 v18, v18, v22
	s_delay_alu instid0(VALU_DEP_2) | instskip(NEXT) | instid1(VALU_DEP_2)
	v_add_f32_e32 v22, v26, v17
	v_add_f32_e32 v24, v23, v18
	s_delay_alu instid0(VALU_DEP_2) | instskip(NEXT) | instid1(VALU_DEP_2)
	v_sub_f32_e32 v26, v22, v26
	v_add_f32_e32 v25, v22, v24
	v_sub_f32_e32 v23, v24, v23
	s_delay_alu instid0(VALU_DEP_3) | instskip(NEXT) | instid1(VALU_DEP_2)
	v_sub_f32_e32 v17, v17, v26
	v_dual_sub_f32 v27, v25, v22 :: v_dual_sub_f32 v18, v18, v23
	s_delay_alu instid0(VALU_DEP_1) | instskip(NEXT) | instid1(VALU_DEP_2)
	v_sub_f32_e32 v28, v25, v27
	v_dual_sub_f32 v23, v24, v27 :: v_dual_add_f32 v24, v17, v18
	s_delay_alu instid0(VALU_DEP_2) | instskip(NEXT) | instid1(VALU_DEP_1)
	v_sub_f32_e32 v22, v22, v28
	v_dual_add_f32 v22, v23, v22 :: v_dual_sub_f32 v23, v24, v17
	s_delay_alu instid0(VALU_DEP_1) | instskip(NEXT) | instid1(VALU_DEP_2)
	v_add_f32_e32 v22, v24, v22
	v_sub_f32_e32 v24, v24, v23
	v_sub_f32_e32 v18, v18, v23
	s_delay_alu instid0(VALU_DEP_3) | instskip(NEXT) | instid1(VALU_DEP_3)
	v_add_f32_e32 v26, v25, v22
	v_sub_f32_e32 v17, v17, v24
	s_delay_alu instid0(VALU_DEP_2) | instskip(NEXT) | instid1(VALU_DEP_2)
	v_sub_f32_e32 v23, v26, v25
	v_add_f32_e32 v17, v18, v17
	s_delay_alu instid0(VALU_DEP_2) | instskip(NEXT) | instid1(VALU_DEP_1)
	v_sub_f32_e32 v18, v22, v23
	v_add_f32_e32 v17, v17, v18
	s_delay_alu instid0(VALU_DEP_1) | instskip(NEXT) | instid1(VALU_DEP_1)
	v_add_f32_e32 v17, v26, v17
	v_cndmask_b32_e64 v72, v17, v21, s0
.LBB9_12:
	s_or_b32 exec_lo, exec_lo, s4
	v_add_co_u32 v53, s0, v19, s16
	s_delay_alu instid0(VALU_DEP_1) | instskip(NEXT) | instid1(VALU_DEP_3)
	v_add_co_ci_u32_e64 v54, s0, s17, v20, s0
	v_dual_mov_b32 v21, 0 :: v_dual_mul_f32 v76, v72, v15
	v_mul_f32_e32 v73, v72, v13
	global_load_b32 v74, v[53:54], off
	ds_load_b128 v[90:93], v21
	ds_load_b128 v[37:40], v21 offset:16
	ds_load_b128 v[25:28], v21 offset:32
	;; [unrolled: 1-line block ×3, first 2 shown]
	v_dual_mul_f32 v100, 0x3fb8aa3b, v76 :: v_dual_mul_f32 v75, v72, v14
	v_mul_f32_e32 v98, 0x3fb8aa3b, v73
	v_mul_f32_e32 v78, v72, v9
	v_cmp_ngt_f32_e64 s0, 0xc2ce8ed0, v73
	s_delay_alu instid0(VALU_DEP_4) | instskip(SKIP_1) | instid1(VALU_DEP_4)
	v_fma_f32 v118, 0x3fb8aa3b, v76, -v100
	v_mul_f32_e32 v99, 0x3fb8aa3b, v75
	v_dual_mul_f32 v77, v72, v16 :: v_dual_mul_f32 v102, 0x3fb8aa3b, v78
	v_mul_f32_e32 v80, v72, v11
	v_fma_f32 v114, 0x3fb8aa3b, v73, -v98
	v_mul_f32_e32 v89, v72, v4
	s_delay_alu instid0(VALU_DEP_4) | instskip(NEXT) | instid1(VALU_DEP_4)
	v_mul_f32_e32 v101, 0x3fb8aa3b, v77
	v_dual_mul_f32 v79, v72, v10 :: v_dual_mul_f32 v104, 0x3fb8aa3b, v80
	v_mul_f32_e32 v82, v72, v5
	v_rndne_f32_e32 v115, v98
	v_fma_f32 v116, 0x3fb8aa3b, v75, -v99
	s_delay_alu instid0(VALU_DEP_4) | instskip(NEXT) | instid1(VALU_DEP_4)
	v_mul_f32_e32 v103, 0x3fb8aa3b, v79
	v_dual_mul_f32 v81, v72, v12 :: v_dual_mul_f32 v106, 0x3fb8aa3b, v82
	v_mul_f32_e32 v84, v72, v7
	v_rndne_f32_e32 v117, v99
	v_fmac_f32_e32 v114, 0x32a5705f, v73
	s_delay_alu instid0(VALU_DEP_4) | instskip(NEXT) | instid1(VALU_DEP_4)
	v_mul_f32_e32 v105, 0x3fb8aa3b, v81
	v_dual_mul_f32 v83, v72, v6 :: v_dual_mul_f32 v108, 0x3fb8aa3b, v84
	v_mul_f32_e32 v86, v72, v1
	v_dual_mul_f32 v113, 0x3fb8aa3b, v89 :: v_dual_sub_f32 v98, v98, v115
	s_delay_alu instid0(VALU_DEP_3) | instskip(NEXT) | instid1(VALU_DEP_3)
	v_mul_f32_e32 v107, 0x3fb8aa3b, v83
	v_dual_mul_f32 v85, v72, v8 :: v_dual_mul_f32 v110, 0x3fb8aa3b, v86
	v_mul_f32_e32 v88, v72, v3
	v_rndne_f32_e32 v119, v100
	v_fma_f32 v120, 0x3fb8aa3b, v77, -v101
	s_delay_alu instid0(VALU_DEP_4) | instskip(NEXT) | instid1(VALU_DEP_4)
	v_mul_f32_e32 v109, 0x3fb8aa3b, v85
	v_dual_mul_f32 v87, v72, v2 :: v_dual_mul_f32 v112, 0x3fb8aa3b, v88
	v_dual_fmac_f32 v116, 0x32a5705f, v75 :: v_dual_sub_f32 v99, v99, v117
	s_delay_alu instid0(VALU_DEP_2)
	v_dual_add_f32 v98, v98, v114 :: v_dual_mul_f32 v111, 0x3fb8aa3b, v87
	v_rndne_f32_e32 v121, v101
	v_rndne_f32_e32 v125, v103
	v_fmac_f32_e32 v118, 0x32a5705f, v76
	v_sub_f32_e32 v100, v100, v119
	v_dual_fmac_f32 v120, 0x32a5705f, v77 :: v_dual_add_f32 v99, v99, v116
	v_exp_f32_e32 v98, v98
	v_fma_f32 v122, 0x3fb8aa3b, v78, -v102
	v_rndne_f32_e32 v123, v102
	v_fma_f32 v124, 0x3fb8aa3b, v79, -v103
	v_fma_f32 v128, 0x3fb8aa3b, v81, -v105
	v_cvt_i32_f32_e32 v115, v115
	v_sub_f32_e32 v101, v101, v121
	v_sub_f32_e32 v103, v103, v125
	v_exp_f32_e32 v99, v99
	v_rndne_f32_e32 v129, v105
	v_rndne_f32_e32 v133, v107
	v_cvt_i32_f32_e32 v117, v117
	v_fmac_f32_e32 v122, 0x32a5705f, v78
	v_sub_f32_e32 v102, v102, v123
	v_dual_fmac_f32 v128, 0x32a5705f, v81 :: v_dual_add_f32 v101, v101, v120
	v_ldexp_f32 v98, v98, v115
	v_fma_f32 v126, 0x3fb8aa3b, v80, -v104
	v_rndne_f32_e32 v127, v104
	v_fma_f32 v130, 0x3fb8aa3b, v82, -v106
	v_fma_f32 v132, 0x3fb8aa3b, v83, -v107
	v_rndne_f32_e32 v137, v109
	v_cvt_i32_f32_e32 v119, v119
	v_dual_fmac_f32 v124, 0x32a5705f, v79 :: v_dual_sub_f32 v105, v105, v129
	v_dual_sub_f32 v107, v107, v133 :: v_dual_add_f32 v102, v102, v122
	v_exp_f32_e32 v101, v101
	v_ldexp_f32 v99, v99, v117
	v_cndmask_b32_e64 v98, 0, v98, s0
	v_cmp_ngt_f32_e64 s0, 0xc2ce8ed0, v75
	v_fma_f32 v136, 0x3fb8aa3b, v85, -v109
	v_rndne_f32_e32 v141, v111
	v_rndne_f32_e32 v145, v113
	v_cvt_i32_f32_e32 v121, v121
	v_fmac_f32_e32 v126, 0x32a5705f, v80
	v_dual_sub_f32 v104, v104, v127 :: v_dual_sub_f32 v109, v109, v137
	v_dual_fmac_f32 v130, 0x32a5705f, v82 :: v_dual_add_f32 v103, v103, v124
	v_exp_f32_e32 v102, v102
	v_cndmask_b32_e64 v99, 0, v99, s0
	v_cmp_ngt_f32_e64 s0, 0xc2ce8ed0, v76
	ds_load_b128 v[94:97], v21 offset:64
	ds_load_b128 v[33:36], v21 offset:80
	v_rndne_f32_e32 v131, v106
	v_fma_f32 v140, 0x3fb8aa3b, v87, -v111
	v_fma_f32 v144, 0x3fb8aa3b, v89, -v113
	v_cvt_i32_f32_e32 v123, v123
	v_sub_f32_e32 v111, v111, v141
	v_dual_sub_f32 v113, v113, v145 :: v_dual_add_f32 v104, v104, v126
	v_exp_f32_e32 v103, v103
	v_ldexp_f32 v101, v101, v121
	v_cvt_i32_f32_e32 v125, v125
	v_dual_sub_f32 v106, v106, v131 :: v_dual_add_f32 v105, v105, v128
	v_exp_f32_e32 v104, v104
	v_ldexp_f32 v102, v102, v123
	v_fma_f32 v134, 0x3fb8aa3b, v84, -v108
	v_rndne_f32_e32 v135, v108
	v_cvt_i32_f32_e32 v127, v127
	v_add_f32_e32 v106, v106, v130
	v_exp_f32_e32 v105, v105
	v_ldexp_f32 v103, v103, v125
	v_cvt_i32_f32_e32 v129, v129
	v_fma_f32 v138, 0x3fb8aa3b, v86, -v110
	v_exp_f32_e32 v106, v106
	v_ldexp_f32 v104, v104, v127
	v_rndne_f32_e32 v139, v110
	v_cvt_i32_f32_e32 v131, v131
	v_cvt_i32_f32_e32 v133, v133
	v_fmac_f32_e32 v144, 0x32a5705f, v89
	v_ldexp_f32 v105, v105, v129
	v_fmac_f32_e32 v138, 0x32a5705f, v86
	v_sub_f32_e32 v110, v110, v139
	v_fma_f32 v142, 0x3fb8aa3b, v88, -v112
	v_ldexp_f32 v106, v106, v131
	v_rndne_f32_e32 v143, v112
	s_delay_alu instid0(VALU_DEP_4)
	v_dual_add_f32 v113, v113, v144 :: v_dual_add_f32 v110, v110, v138
	v_cvt_i32_f32_e32 v137, v137
	v_fmac_f32_e32 v142, 0x32a5705f, v88
	v_cvt_i32_f32_e32 v139, v139
	v_cvt_i32_f32_e32 v141, v141
	v_exp_f32_e32 v110, v110
	v_exp_f32_e32 v113, v113
	v_cvt_i32_f32_e32 v145, v145
	ds_load_b128 v[29:32], v21 offset:96
	ds_load_b128 v[21:24], v21 offset:112
	v_ldexp_f32 v110, v110, v139
	v_ldexp_f32 v113, v113, v145
	s_waitcnt vmcnt(0)
	v_mul_f32_e32 v74, v72, v74
	v_add_f32_e32 v100, v100, v118
	v_fmac_f32_e32 v140, 0x32a5705f, v87
	v_fmac_f32_e32 v136, 0x32a5705f, v85
	s_waitcnt lgkmcnt(6)
	v_dual_fmac_f32 v134, 0x32a5705f, v84 :: v_dual_mul_f32 v37, v74, v37
	v_exp_f32_e32 v100, v100
	v_dual_add_f32 v111, v111, v140 :: v_dual_fmac_f32 v132, 0x32a5705f, v83
	v_dual_add_f32 v109, v109, v136 :: v_dual_sub_f32 v108, v108, v135
	v_mul_f32_e32 v39, v74, v39
	v_cvt_i32_f32_e32 v135, v135
	s_delay_alu instid0(VALU_DEP_4) | instskip(NEXT) | instid1(VALU_DEP_4)
	v_add_f32_e32 v107, v107, v132
	v_exp_f32_e32 v109, v109
	v_add_f32_e32 v108, v108, v134
	s_delay_alu instid0(TRANS32_DEP_2)
	v_ldexp_f32 v100, v100, v119
	v_sub_f32_e32 v112, v112, v143
	v_exp_f32_e32 v107, v107
	v_exp_f32_e32 v111, v111
	;; [unrolled: 1-line block ×3, first 2 shown]
	v_cndmask_b32_e64 v100, 0, v100, s0
	v_cmp_ngt_f32_e64 s0, 0xc2ce8ed0, v77
	v_add_f32_e32 v112, v112, v142
	v_ldexp_f32 v109, v109, v137
	v_cvt_i32_f32_e32 v143, v143
	v_mul_f32_e32 v72, v74, v90
	v_cndmask_b32_e64 v101, 0, v101, s0
	v_cmp_ngt_f32_e64 s0, 0xc2ce8ed0, v78
	v_ldexp_f32 v107, v107, v133
	v_ldexp_f32 v108, v108, v135
	v_exp_f32_e32 v112, v112
	v_ldexp_f32 v111, v111, v141
	v_cndmask_b32_e64 v102, 0, v102, s0
	v_cmp_ngt_f32_e64 s0, 0xc2ce8ed0, v79
	v_mul_f32_e32 v38, v74, v38
	s_delay_alu instid0(VALU_DEP_2) | instskip(SKIP_1) | instid1(TRANS32_DEP_1)
	v_cndmask_b32_e64 v103, 0, v103, s0
	v_cmp_ngt_f32_e64 s0, 0xc2ce8ed0, v80
	v_ldexp_f32 v112, v112, v143
	s_delay_alu instid0(VALU_DEP_2) | instskip(SKIP_1) | instid1(VALU_DEP_1)
	v_cndmask_b32_e64 v104, 0, v104, s0
	v_cmp_ngt_f32_e64 s0, 0xc2ce8ed0, v81
	v_cndmask_b32_e64 v105, 0, v105, s0
	v_cmp_ngt_f32_e64 s0, 0xc2ce8ed0, v82
	s_delay_alu instid0(VALU_DEP_1) | instskip(SKIP_1) | instid1(VALU_DEP_1)
	v_cndmask_b32_e64 v106, 0, v106, s0
	v_cmp_ngt_f32_e64 s0, 0xc2ce8ed0, v83
	v_cndmask_b32_e64 v107, 0, v107, s0
	v_cmp_ngt_f32_e64 s0, 0xc2ce8ed0, v84
	s_delay_alu instid0(VALU_DEP_1) | instskip(SKIP_1) | instid1(VALU_DEP_1)
	;; [unrolled: 5-line block ×3, first 2 shown]
	v_cndmask_b32_e64 v110, 0, v110, s0
	v_cmp_ngt_f32_e64 s0, 0xc2ce8ed0, v87
	v_cndmask_b32_e64 v111, 0, v111, s0
	v_cmp_ngt_f32_e64 s0, 0xc2ce8ed0, v88
	s_delay_alu instid0(VALU_DEP_1) | instskip(SKIP_2) | instid1(VALU_DEP_2)
	v_cndmask_b32_e64 v112, 0, v112, s0
	v_cmp_nlt_f32_e64 s0, 0x42b17218, v73
	v_mul_f32_e32 v73, v74, v91
	v_cndmask_b32_e64 v98, 0x7f800000, v98, s0
	v_cmp_ngt_f32_e64 s0, 0xc2ce8ed0, v89
	s_delay_alu instid0(VALU_DEP_2) | instskip(NEXT) | instid1(VALU_DEP_2)
	v_fmac_f32_e32 v72, v57, v98
	v_cndmask_b32_e64 v90, 0, v113, s0
	v_cmp_nlt_f32_e64 s0, 0x42b17218, v75
	v_mul_f32_e32 v57, v74, v92
	s_delay_alu instid0(VALU_DEP_2) | instskip(SKIP_1) | instid1(VALU_DEP_2)
	v_cndmask_b32_e64 v75, 0x7f800000, v99, s0
	v_cmp_nlt_f32_e64 s0, 0x42b17218, v76
	v_fmac_f32_e32 v73, v71, v75
	s_delay_alu instid0(VALU_DEP_2)
	v_cndmask_b32_e64 v76, 0x7f800000, v100, s0
	v_cmp_nlt_f32_e64 s0, 0x42b17218, v77
	s_waitcnt lgkmcnt(3)
	v_fma_f32 v75, v94, v72, 0
	v_mul_f32_e32 v71, v74, v93
	v_fmac_f32_e32 v57, v58, v76
	v_cndmask_b32_e64 v77, 0x7f800000, v101, s0
	v_cmp_nlt_f32_e64 s0, 0x42b17218, v78
	v_fmac_f32_e32 v75, v95, v73
	s_delay_alu instid0(VALU_DEP_3) | instskip(NEXT) | instid1(VALU_DEP_3)
	v_fmac_f32_e32 v71, v59, v77
	v_cndmask_b32_e64 v58, 0x7f800000, v102, s0
	v_cmp_nlt_f32_e64 s0, 0x42b17218, v79
	s_delay_alu instid0(VALU_DEP_4) | instskip(NEXT) | instid1(VALU_DEP_2)
	v_fmac_f32_e32 v75, v96, v57
	v_cndmask_b32_e64 v59, 0x7f800000, v103, s0
	v_cmp_nlt_f32_e64 s0, 0x42b17218, v80
	v_fmac_f32_e32 v37, v60, v58
	s_delay_alu instid0(VALU_DEP_4) | instskip(NEXT) | instid1(VALU_DEP_4)
	v_fmac_f32_e32 v75, v97, v71
	v_fmac_f32_e32 v38, v61, v59
	s_delay_alu instid0(VALU_DEP_4) | instskip(SKIP_4) | instid1(VALU_DEP_3)
	v_cndmask_b32_e64 v58, 0x7f800000, v104, s0
	v_cmp_nlt_f32_e64 s0, 0x42b17218, v81
	s_waitcnt lgkmcnt(2)
	v_fmac_f32_e32 v75, v33, v37
	v_mul_f32_e32 v33, v74, v40
	v_cndmask_b32_e64 v59, 0x7f800000, v105, s0
	v_cmp_nlt_f32_e64 s0, 0x42b17218, v82
	s_delay_alu instid0(VALU_DEP_4) | instskip(NEXT) | instid1(VALU_DEP_3)
	v_fmac_f32_e32 v75, v34, v38
	v_fmac_f32_e32 v33, v63, v59
	s_delay_alu instid0(VALU_DEP_3)
	v_cndmask_b32_e64 v40, 0x7f800000, v106, s0
	v_cmp_nlt_f32_e64 s0, 0x42b17218, v83
	v_mul_f32_e32 v34, v74, v25
	v_fmac_f32_e32 v39, v62, v58
	v_mul_f32_e32 v60, v74, v18
	v_mul_f32_e32 v59, v74, v17
	v_cndmask_b32_e64 v25, 0x7f800000, v107, s0
	v_cmp_nlt_f32_e64 s0, 0x42b17218, v84
	v_dual_fmac_f32 v34, v64, v40 :: v_dual_fmac_f32 v75, v35, v39
	v_mul_f32_e32 v35, v74, v26
	v_mul_f32_e32 v62, v74, v20
	s_delay_alu instid0(VALU_DEP_4) | instskip(SKIP_4) | instid1(VALU_DEP_4)
	v_cndmask_b32_e64 v26, 0x7f800000, v108, s0
	v_cmp_nlt_f32_e64 s0, 0x42b17218, v85
	v_dual_fmac_f32 v75, v36, v33 :: v_dual_mul_f32 v40, v74, v27
	v_fmac_f32_e32 v35, v65, v25
	v_mul_f32_e32 v61, v74, v19
	v_cndmask_b32_e64 v25, 0x7f800000, v109, s0
	s_waitcnt lgkmcnt(1)
	v_fmac_f32_e32 v75, v29, v34
	v_cmp_nlt_f32_e64 s0, 0x42b17218, v86
	v_fmac_f32_e32 v40, v66, v26
	s_delay_alu instid0(VALU_DEP_2) | instskip(SKIP_1) | instid1(VALU_DEP_2)
	v_cndmask_b32_e64 v26, 0x7f800000, v110, s0
	v_cmp_nlt_f32_e64 s0, 0x42b17218, v87
	v_dual_mul_f32 v58, v74, v28 :: v_dual_fmac_f32 v59, v68, v26
	s_delay_alu instid0(VALU_DEP_2) | instskip(SKIP_1) | instid1(VALU_DEP_3)
	v_cndmask_b32_e64 v17, 0x7f800000, v111, s0
	v_cmp_nlt_f32_e64 s0, 0x42b17218, v88
	v_fmac_f32_e32 v58, v67, v25
	s_delay_alu instid0(VALU_DEP_3) | instskip(NEXT) | instid1(VALU_DEP_3)
	v_fmac_f32_e32 v60, v69, v17
	v_cndmask_b32_e64 v18, 0x7f800000, v112, s0
	v_cmp_nlt_f32_e64 s0, 0x42b17218, v89
	s_delay_alu instid0(VALU_DEP_2) | instskip(NEXT) | instid1(VALU_DEP_2)
	v_fmac_f32_e32 v61, v70, v18
	v_cndmask_b32_e64 v17, 0x7f800000, v90, s0
	v_fmac_f32_e32 v75, v30, v35
	s_ashr_i64 s[0:1], s[24:25], 29
	s_delay_alu instid0(VALU_DEP_1) | instskip(SKIP_1) | instid1(VALU_DEP_1)
	v_dual_fmac_f32 v62, v56, v17 :: v_dual_fmac_f32 v75, v31, v40
	v_add_co_u32 v17, s0, v47, s0
	v_add_co_ci_u32_e64 v18, s0, s1, v48, s0
	s_delay_alu instid0(VALU_DEP_3) | instskip(SKIP_1) | instid1(VALU_DEP_1)
	v_fmac_f32_e32 v75, v32, v58
	s_waitcnt lgkmcnt(0)
	v_fmac_f32_e32 v75, v21, v59
	s_delay_alu instid0(VALU_DEP_1) | instskip(NEXT) | instid1(VALU_DEP_1)
	v_fmac_f32_e32 v75, v22, v60
	v_fmac_f32_e32 v75, v23, v61
	s_delay_alu instid0(VALU_DEP_1)
	v_fmac_f32_e32 v75, v24, v62
	global_store_b32 v[17:18], v75, off
	s_waitcnt_vscnt null, 0x0
	s_barrier
	buffer_gl0_inv
	s_and_saveexec_b32 s0, vcc_lo
	s_cbranch_execz .LBB9_14
; %bb.13:
	v_mad_i64_i32 v[17:18], null, s2, 12, v[43:44]
	v_mad_i64_i32 v[19:20], null, s10, 12, v[45:46]
	global_load_b32 v17, v[17:18], off
	global_load_b32 v18, v[19:20], off
	s_waitcnt vmcnt(1)
	ds_store_b32 v55, v17
	s_waitcnt vmcnt(0)
	ds_store_b32 v0, v18
.LBB9_14:
	s_or_b32 exec_lo, exec_lo, s0
	v_add_co_u32 v17, s0, v51, s8
	s_delay_alu instid0(VALU_DEP_1)
	v_add_co_ci_u32_e64 v18, s0, s9, v52, s0
	s_waitcnt lgkmcnt(0)
	s_barrier
	buffer_gl0_inv
	global_load_b32 v21, v[17:18], off
	s_mov_b32 s4, exec_lo
	s_waitcnt vmcnt(0)
	v_cmpx_ge_f32_e32 0x41a00000, v21
	s_cbranch_execz .LBB9_16
; %bb.15:
	v_mul_f32_e32 v19, 0x3fb8aa3b, v21
	v_cmp_ngt_f32_e64 s0, 0xc2ce8ed0, v21
	s_delay_alu instid0(VALU_DEP_2) | instskip(SKIP_1) | instid1(VALU_DEP_1)
	v_rndne_f32_e32 v20, v19
	v_fma_f32 v22, 0x3fb8aa3b, v21, -v19
	v_dual_sub_f32 v19, v19, v20 :: v_dual_fmamk_f32 v22, v21, 0x32a5705f, v22
	v_cvt_i32_f32_e32 v20, v20
	s_delay_alu instid0(VALU_DEP_2) | instskip(NEXT) | instid1(VALU_DEP_1)
	v_add_f32_e32 v19, v19, v22
	v_exp_f32_e32 v19, v19
	s_waitcnt_depctr 0xfff
	v_ldexp_f32 v19, v19, v20
	s_delay_alu instid0(VALU_DEP_1) | instskip(SKIP_1) | instid1(VALU_DEP_1)
	v_cndmask_b32_e64 v19, 0, v19, s0
	v_cmp_nlt_f32_e64 s0, 0x42b17218, v21
	v_cndmask_b32_e64 v21, 0x7f800000, v19, s0
	s_delay_alu instid0(VALU_DEP_1) | instskip(SKIP_1) | instid1(VALU_DEP_2)
	v_add_f32_e32 v22, 1.0, v21
	v_cmp_gt_f32_e64 s1, 0x33800000, v21
	v_cvt_f64_f32_e32 v[19:20], v22
	s_delay_alu instid0(VALU_DEP_1) | instskip(SKIP_1) | instid1(VALU_DEP_1)
	v_frexp_exp_i32_f64_e32 v19, v[19:20]
	v_frexp_mant_f32_e32 v20, v22
	v_cmp_gt_f32_e64 s0, 0x3f2aaaab, v20
	v_add_f32_e32 v20, -1.0, v22
	s_delay_alu instid0(VALU_DEP_1) | instskip(NEXT) | instid1(VALU_DEP_3)
	v_sub_f32_e32 v24, v20, v22
	v_subrev_co_ci_u32_e64 v19, s0, 0, v19, s0
	s_mov_b32 s0, 0x3e9b6dac
	s_delay_alu instid0(VALU_DEP_1) | instskip(SKIP_1) | instid1(VALU_DEP_2)
	v_sub_nc_u32_e32 v23, 0, v19
	v_cvt_f32_i32_e32 v19, v19
	v_ldexp_f32 v22, v22, v23
	v_sub_f32_e32 v20, v21, v20
	s_delay_alu instid0(VALU_DEP_2) | instskip(NEXT) | instid1(VALU_DEP_1)
	v_dual_add_f32 v24, 1.0, v24 :: v_dual_add_f32 v25, 1.0, v22
	v_add_f32_e32 v20, v20, v24
	s_delay_alu instid0(VALU_DEP_2) | instskip(NEXT) | instid1(VALU_DEP_2)
	v_add_f32_e32 v24, -1.0, v25
	v_ldexp_f32 v20, v20, v23
	s_delay_alu instid0(VALU_DEP_2) | instskip(NEXT) | instid1(VALU_DEP_1)
	v_dual_add_f32 v23, -1.0, v22 :: v_dual_sub_f32 v24, v22, v24
	v_add_f32_e32 v26, 1.0, v23
	s_delay_alu instid0(VALU_DEP_2) | instskip(NEXT) | instid1(VALU_DEP_2)
	v_add_f32_e32 v24, v20, v24
	v_sub_f32_e32 v22, v22, v26
	s_delay_alu instid0(VALU_DEP_1) | instskip(NEXT) | instid1(VALU_DEP_1)
	v_add_f32_e32 v20, v20, v22
	v_add_f32_e32 v27, v23, v20
	s_delay_alu instid0(VALU_DEP_1) | instskip(NEXT) | instid1(VALU_DEP_1)
	v_dual_sub_f32 v23, v23, v27 :: v_dual_add_f32 v26, v25, v24
	v_add_f32_e32 v20, v20, v23
	s_delay_alu instid0(VALU_DEP_2) | instskip(SKIP_1) | instid1(VALU_DEP_1)
	v_rcp_f32_e32 v22, v26
	v_sub_f32_e32 v25, v25, v26
	v_add_f32_e32 v24, v24, v25
	s_waitcnt_depctr 0xfff
	v_mul_f32_e32 v28, v27, v22
	s_delay_alu instid0(VALU_DEP_1) | instskip(NEXT) | instid1(VALU_DEP_1)
	v_mul_f32_e32 v29, v26, v28
	v_fma_f32 v25, v28, v26, -v29
	s_delay_alu instid0(VALU_DEP_1) | instskip(NEXT) | instid1(VALU_DEP_1)
	v_fmac_f32_e32 v25, v28, v24
	v_add_f32_e32 v30, v29, v25
	s_delay_alu instid0(VALU_DEP_1) | instskip(SKIP_1) | instid1(VALU_DEP_2)
	v_sub_f32_e32 v31, v27, v30
	v_sub_f32_e32 v23, v30, v29
	;; [unrolled: 1-line block ×3, first 2 shown]
	s_delay_alu instid0(VALU_DEP_2) | instskip(NEXT) | instid1(VALU_DEP_2)
	v_sub_f32_e32 v23, v23, v25
	v_sub_f32_e32 v27, v27, v30
	s_delay_alu instid0(VALU_DEP_1) | instskip(NEXT) | instid1(VALU_DEP_1)
	v_add_f32_e32 v20, v20, v27
	v_add_f32_e32 v20, v23, v20
	s_delay_alu instid0(VALU_DEP_1) | instskip(NEXT) | instid1(VALU_DEP_1)
	v_add_f32_e32 v23, v31, v20
	v_mul_f32_e32 v25, v22, v23
	s_delay_alu instid0(VALU_DEP_1) | instskip(NEXT) | instid1(VALU_DEP_1)
	v_dual_sub_f32 v30, v31, v23 :: v_dual_mul_f32 v27, v26, v25
	v_fma_f32 v26, v25, v26, -v27
	s_delay_alu instid0(VALU_DEP_1) | instskip(NEXT) | instid1(VALU_DEP_1)
	v_fmac_f32_e32 v26, v25, v24
	v_add_f32_e32 v24, v27, v26
	s_delay_alu instid0(VALU_DEP_1) | instskip(SKIP_1) | instid1(VALU_DEP_2)
	v_sub_f32_e32 v29, v23, v24
	v_sub_f32_e32 v27, v24, v27
	v_dual_sub_f32 v23, v23, v29 :: v_dual_add_f32 v20, v20, v30
	s_delay_alu instid0(VALU_DEP_1) | instskip(NEXT) | instid1(VALU_DEP_3)
	v_sub_f32_e32 v23, v23, v24
	v_sub_f32_e32 v24, v27, v26
	s_delay_alu instid0(VALU_DEP_2) | instskip(SKIP_1) | instid1(VALU_DEP_2)
	v_add_f32_e32 v20, v20, v23
	v_add_f32_e32 v23, v28, v25
	;; [unrolled: 1-line block ×3, first 2 shown]
	s_delay_alu instid0(VALU_DEP_2) | instskip(NEXT) | instid1(VALU_DEP_2)
	v_sub_f32_e32 v24, v23, v28
	v_add_f32_e32 v20, v29, v20
	s_delay_alu instid0(VALU_DEP_2) | instskip(NEXT) | instid1(VALU_DEP_2)
	v_sub_f32_e32 v24, v25, v24
	v_mul_f32_e32 v20, v22, v20
	s_delay_alu instid0(VALU_DEP_1) | instskip(NEXT) | instid1(VALU_DEP_1)
	v_add_f32_e32 v20, v24, v20
	v_add_f32_e32 v22, v23, v20
	s_delay_alu instid0(VALU_DEP_1) | instskip(NEXT) | instid1(VALU_DEP_1)
	v_mul_f32_e32 v24, v22, v22
	v_fmaak_f32 v25, s0, v24, 0x3ecc95a3
	v_mul_f32_e32 v26, v22, v24
	v_cmp_eq_f32_e64 s0, 0x7f800000, v21
	s_delay_alu instid0(VALU_DEP_3) | instskip(SKIP_2) | instid1(VALU_DEP_4)
	v_fmaak_f32 v24, v24, v25, 0x3f2aaada
	v_ldexp_f32 v25, v22, 1
	v_sub_f32_e32 v22, v22, v23
	s_or_b32 s0, s1, s0
	s_delay_alu instid0(VALU_DEP_3) | instskip(NEXT) | instid1(VALU_DEP_1)
	v_mul_f32_e32 v24, v26, v24
	v_dual_sub_f32 v20, v20, v22 :: v_dual_add_f32 v23, v25, v24
	s_delay_alu instid0(VALU_DEP_1) | instskip(NEXT) | instid1(VALU_DEP_2)
	v_ldexp_f32 v20, v20, 1
	v_sub_f32_e32 v22, v23, v25
	s_delay_alu instid0(VALU_DEP_1) | instskip(NEXT) | instid1(VALU_DEP_1)
	v_sub_f32_e32 v22, v24, v22
	v_add_f32_e32 v20, v20, v22
	s_delay_alu instid0(VALU_DEP_1) | instskip(SKIP_1) | instid1(VALU_DEP_2)
	v_add_f32_e32 v24, v23, v20
	v_mul_f32_e32 v26, 0x3f317218, v19
	v_sub_f32_e32 v23, v24, v23
	s_delay_alu instid0(VALU_DEP_2) | instskip(NEXT) | instid1(VALU_DEP_1)
	v_fma_f32 v25, 0x3f317218, v19, -v26
	v_dual_sub_f32 v20, v20, v23 :: v_dual_fmamk_f32 v19, v19, 0xb102e308, v25
	s_delay_alu instid0(VALU_DEP_1) | instskip(NEXT) | instid1(VALU_DEP_1)
	v_add_f32_e32 v22, v26, v19
	v_add_f32_e32 v25, v22, v24
	v_sub_f32_e32 v26, v22, v26
	s_delay_alu instid0(VALU_DEP_2) | instskip(NEXT) | instid1(VALU_DEP_1)
	v_sub_f32_e32 v27, v25, v22
	v_dual_sub_f32 v19, v19, v26 :: v_dual_sub_f32 v28, v25, v27
	s_delay_alu instid0(VALU_DEP_1) | instskip(NEXT) | instid1(VALU_DEP_2)
	v_dual_sub_f32 v23, v24, v27 :: v_dual_add_f32 v24, v19, v20
	v_sub_f32_e32 v22, v22, v28
	s_delay_alu instid0(VALU_DEP_1) | instskip(NEXT) | instid1(VALU_DEP_1)
	v_dual_add_f32 v22, v23, v22 :: v_dual_sub_f32 v23, v24, v19
	v_add_f32_e32 v22, v24, v22
	s_delay_alu instid0(VALU_DEP_2) | instskip(SKIP_1) | instid1(VALU_DEP_2)
	v_sub_f32_e32 v24, v24, v23
	v_sub_f32_e32 v20, v20, v23
	v_dual_add_f32 v26, v25, v22 :: v_dual_sub_f32 v19, v19, v24
	s_delay_alu instid0(VALU_DEP_1) | instskip(NEXT) | instid1(VALU_DEP_2)
	v_sub_f32_e32 v23, v26, v25
	v_add_f32_e32 v19, v20, v19
	s_delay_alu instid0(VALU_DEP_2) | instskip(NEXT) | instid1(VALU_DEP_1)
	v_sub_f32_e32 v20, v22, v23
	v_add_f32_e32 v19, v19, v20
	s_delay_alu instid0(VALU_DEP_1) | instskip(NEXT) | instid1(VALU_DEP_1)
	v_add_f32_e32 v19, v26, v19
	v_cndmask_b32_e64 v21, v19, v21, s0
.LBB9_16:
	s_or_b32 exec_lo, exec_lo, s4
	v_add_co_u32 v19, s0, v53, s16
	s_delay_alu instid0(VALU_DEP_1) | instskip(NEXT) | instid1(VALU_DEP_3)
	v_add_co_ci_u32_e64 v20, s0, s17, v54, s0
	v_dual_mul_f32 v31, v21, v13 :: v_dual_mov_b32 v32, 0
	v_mul_f32_e32 v36, v21, v14
	global_load_b32 v30, v[19:20], off
	ds_load_b128 v[22:25], v32
	ds_load_b128 v[26:29], v32 offset:16
	ds_load_b128 v[51:54], v32 offset:32
	;; [unrolled: 1-line block ×3, first 2 shown]
	v_mul_f32_e32 v99, 0x3fb8aa3b, v31
	v_dual_mul_f32 v87, v21, v9 :: v_dual_mul_f32 v100, 0x3fb8aa3b, v36
	v_mul_f32_e32 v86, v21, v16
	ds_load_b128 v[67:70], v32 offset:64
	ds_load_b128 v[74:77], v32 offset:80
	v_rndne_f32_e32 v115, v99
	v_mul_f32_e32 v103, 0x3fb8aa3b, v87
	v_dual_mul_f32 v89, v21, v11 :: v_dual_mul_f32 v102, 0x3fb8aa3b, v86
	v_mul_f32_e32 v56, v21, v15
	v_mul_f32_e32 v96, v21, v2
	s_delay_alu instid0(VALU_DEP_4) | instskip(NEXT) | instid1(VALU_DEP_4)
	v_rndne_f32_e32 v123, v103
	v_dual_mul_f32 v98, v21, v4 :: v_dual_mul_f32 v105, 0x3fb8aa3b, v89
	s_delay_alu instid0(VALU_DEP_4)
	v_dual_mul_f32 v88, v21, v10 :: v_dual_mul_f32 v101, 0x3fb8aa3b, v56
	v_mul_f32_e32 v91, v21, v5
	ds_load_b128 v[78:81], v32 offset:96
	ds_load_b128 v[82:85], v32 offset:112
	v_fma_f32 v114, 0x3fb8aa3b, v31, -v99
	v_mul_f32_e32 v104, 0x3fb8aa3b, v88
	v_dual_mul_f32 v90, v21, v12 :: v_dual_mul_f32 v107, 0x3fb8aa3b, v91
	v_mul_f32_e32 v93, v21, v7
	v_fma_f32 v122, 0x3fb8aa3b, v87, -v103
	s_delay_alu instid0(VALU_DEP_3)
	v_dual_sub_f32 v99, v99, v115 :: v_dual_mul_f32 v106, 0x3fb8aa3b, v90
	v_dual_sub_f32 v103, v103, v123 :: v_dual_mul_f32 v32, 0x3fb8aa3b, v96
	v_mul_f32_e32 v113, 0x3fb8aa3b, v98
	v_dual_mul_f32 v92, v21, v6 :: v_dual_mul_f32 v109, 0x3fb8aa3b, v93
	v_mul_f32_e32 v95, v21, v1
	v_fma_f32 v116, 0x3fb8aa3b, v36, -v100
	v_rndne_f32_e32 v117, v100
	s_delay_alu instid0(VALU_DEP_4)
	v_mul_f32_e32 v108, 0x3fb8aa3b, v92
	v_rndne_f32_e32 v121, v102
	v_rndne_f32_e32 v145, v113
	v_fmac_f32_e32 v114, 0x32a5705f, v31
	v_dual_mul_f32 v94, v21, v8 :: v_dual_mul_f32 v111, 0x3fb8aa3b, v95
	v_mul_f32_e32 v97, v21, v3
	v_fma_f32 v118, 0x3fb8aa3b, v56, -v101
	v_rndne_f32_e32 v119, v101
	s_delay_alu instid0(VALU_DEP_4)
	v_mul_f32_e32 v110, 0x3fb8aa3b, v94
	v_fma_f32 v120, 0x3fb8aa3b, v86, -v102
	v_rndne_f32_e32 v127, v105
	v_rndne_f32_e32 v131, v107
	v_fma_f32 v144, 0x3fb8aa3b, v98, -v113
	v_fmac_f32_e32 v116, 0x32a5705f, v36
	v_sub_f32_e32 v100, v100, v117
	v_sub_f32_e32 v113, v113, v145
	v_dual_sub_f32 v102, v102, v121 :: v_dual_add_f32 v99, v99, v114
	v_dual_mul_f32 v112, 0x3fb8aa3b, v97 :: v_dual_sub_f32 v101, v101, v119
	v_fma_f32 v126, 0x3fb8aa3b, v89, -v105
	v_fma_f32 v130, 0x3fb8aa3b, v91, -v107
	v_rndne_f32_e32 v135, v109
	v_dual_fmac_f32 v118, 0x32a5705f, v56 :: v_dual_sub_f32 v105, v105, v127
	v_dual_sub_f32 v107, v107, v131 :: v_dual_add_f32 v100, v100, v116
	v_exp_f32_e32 v99, v99
	v_fma_f32 v134, 0x3fb8aa3b, v93, -v109
	v_fma_f32 v138, 0x3fb8aa3b, v95, -v111
	v_rndne_f32_e32 v139, v111
	v_cvt_i32_f32_e32 v115, v115
	v_dual_fmac_f32 v120, 0x32a5705f, v86 :: v_dual_sub_f32 v109, v109, v135
	v_dual_fmac_f32 v122, 0x32a5705f, v87 :: v_dual_add_f32 v101, v101, v118
	v_exp_f32_e32 v100, v100
	v_fma_f32 v124, 0x3fb8aa3b, v88, -v104
	v_rndne_f32_e32 v125, v104
	v_cvt_i32_f32_e32 v117, v117
	v_fmac_f32_e32 v138, 0x32a5705f, v95
	v_sub_f32_e32 v111, v111, v139
	v_fmac_f32_e32 v130, 0x32a5705f, v91
	v_add_f32_e32 v102, v102, v120
	v_exp_f32_e32 v101, v101
	v_ldexp_f32 v99, v99, v115
	v_cmp_ngt_f32_e64 s0, 0xc2ce8ed0, v31
	v_fma_f32 v132, 0x3fb8aa3b, v92, -v108
	v_cvt_i32_f32_e32 v119, v119
	v_dual_fmac_f32 v124, 0x32a5705f, v88 :: v_dual_add_f32 v103, v103, v122
	v_dual_add_f32 v111, v111, v138 :: v_dual_fmac_f32 v126, 0x32a5705f, v89
	v_dual_add_f32 v107, v107, v130 :: v_dual_sub_f32 v104, v104, v125
	v_exp_f32_e32 v102, v102
	v_ldexp_f32 v100, v100, v117
	s_delay_alu instid0(VALU_DEP_3)
	v_add_f32_e32 v105, v105, v126
	v_cndmask_b32_e64 v99, 0, v99, s0
	v_cmp_ngt_f32_e64 s0, 0xc2ce8ed0, v36
	v_fma_f32 v128, 0x3fb8aa3b, v90, -v106
	v_rndne_f32_e32 v129, v106
	v_cvt_i32_f32_e32 v121, v121
	v_fmac_f32_e32 v132, 0x32a5705f, v92
	v_exp_f32_e32 v103, v103
	v_ldexp_f32 v101, v101, v119
	v_cndmask_b32_e64 v100, 0, v100, s0
	v_cmp_ngt_f32_e64 s0, 0xc2ce8ed0, v56
	v_cvt_i32_f32_e32 v123, v123
	v_fmac_f32_e32 v134, 0x32a5705f, v93
	v_sub_f32_e32 v106, v106, v129
	v_ldexp_f32 v102, v102, v121
	v_cndmask_b32_e64 v101, 0, v101, s0
	v_cmp_ngt_f32_e64 s0, 0xc2ce8ed0, v86
	v_add_f32_e32 v109, v109, v134
	v_rndne_f32_e32 v133, v108
	v_cvt_i32_f32_e32 v125, v125
	v_exp_f32_e32 v105, v105
	v_ldexp_f32 v103, v103, v123
	v_cndmask_b32_e64 v102, 0, v102, s0
	v_cmp_ngt_f32_e64 s0, 0xc2ce8ed0, v87
	v_cvt_i32_f32_e32 v127, v127
	v_fma_f32 v136, 0x3fb8aa3b, v94, -v110
	v_rndne_f32_e32 v137, v110
	v_cvt_i32_f32_e32 v129, v129
	v_cndmask_b32_e64 v103, 0, v103, s0
	v_cmp_ngt_f32_e64 s0, 0xc2ce8ed0, v88
	v_exp_f32_e32 v107, v107
	v_ldexp_f32 v105, v105, v127
	v_cvt_i32_f32_e32 v131, v131
	v_fma_f32 v140, 0x3fb8aa3b, v96, -v32
	v_rndne_f32_e32 v141, v32
	v_exp_f32_e32 v109, v109
	v_fma_f32 v142, 0x3fb8aa3b, v97, -v112
	v_rndne_f32_e32 v143, v112
	v_cvt_i32_f32_e32 v135, v135
	v_fmac_f32_e32 v140, 0x32a5705f, v96
	v_ldexp_f32 v107, v107, v131
	v_fmac_f32_e32 v142, 0x32a5705f, v97
	v_exp_f32_e32 v111, v111
	v_cvt_i32_f32_e32 v139, v139
	v_cvt_i32_f32_e32 v145, v145
	v_ldexp_f32 v109, v109, v135
	s_waitcnt_depctr 0xfff
	v_ldexp_f32 v111, v111, v139
	s_waitcnt vmcnt(0)
	v_dual_mul_f32 v21, v21, v30 :: v_dual_add_f32 v104, v104, v124
	v_fmac_f32_e32 v144, 0x32a5705f, v98
	v_fmac_f32_e32 v128, 0x32a5705f, v90
	v_sub_f32_e32 v108, v108, v133
	v_fmac_f32_e32 v136, 0x32a5705f, v94
	v_exp_f32_e32 v104, v104
	v_add_f32_e32 v113, v113, v144
	v_add_f32_e32 v106, v106, v128
	;; [unrolled: 1-line block ×3, first 2 shown]
	v_sub_f32_e32 v110, v110, v137
	v_cvt_i32_f32_e32 v133, v133
	v_sub_f32_e32 v32, v32, v141
	v_exp_f32_e32 v106, v106
	v_exp_f32_e32 v108, v108
	v_add_f32_e32 v110, v110, v136
	v_ldexp_f32 v104, v104, v125
	v_cvt_i32_f32_e32 v137, v137
	v_sub_f32_e32 v112, v112, v143
	v_add_f32_e32 v32, v32, v140
	v_exp_f32_e32 v110, v110
	v_cndmask_b32_e64 v104, 0, v104, s0
	v_cmp_ngt_f32_e64 s0, 0xc2ce8ed0, v89
	v_ldexp_f32 v106, v106, v129
	v_ldexp_f32 v108, v108, v133
	v_add_f32_e32 v112, v112, v142
	v_exp_f32_e32 v32, v32
	v_cndmask_b32_e64 v105, 0, v105, s0
	v_cmp_ngt_f32_e64 s0, 0xc2ce8ed0, v90
	v_cvt_i32_f32_e32 v141, v141
	v_ldexp_f32 v110, v110, v137
	v_exp_f32_e32 v112, v112
	v_cvt_i32_f32_e32 v143, v143
	v_cndmask_b32_e64 v106, 0, v106, s0
	v_cmp_ngt_f32_e64 s0, 0xc2ce8ed0, v91
	v_exp_f32_e32 v113, v113
	v_ldexp_f32 v32, v32, v141
	s_waitcnt lgkmcnt(7)
	v_mul_f32_e32 v22, v21, v22
	v_cndmask_b32_e64 v107, 0, v107, s0
	v_cmp_ngt_f32_e64 s0, 0xc2ce8ed0, v92
	v_ldexp_f32 v112, v112, v143
	s_delay_alu instid0(VALU_DEP_2) | instskip(SKIP_1) | instid1(TRANS32_DEP_1)
	v_cndmask_b32_e64 v108, 0, v108, s0
	v_cmp_ngt_f32_e64 s0, 0xc2ce8ed0, v93
	v_ldexp_f32 v113, v113, v145
	s_delay_alu instid0(VALU_DEP_2) | instskip(SKIP_1) | instid1(VALU_DEP_1)
	v_cndmask_b32_e64 v109, 0, v109, s0
	v_cmp_ngt_f32_e64 s0, 0xc2ce8ed0, v94
	v_cndmask_b32_e64 v110, 0, v110, s0
	v_cmp_ngt_f32_e64 s0, 0xc2ce8ed0, v95
	s_delay_alu instid0(VALU_DEP_1) | instskip(SKIP_1) | instid1(VALU_DEP_1)
	v_cndmask_b32_e64 v111, 0, v111, s0
	v_cmp_ngt_f32_e64 s0, 0xc2ce8ed0, v96
	v_cndmask_b32_e64 v114, 0, v32, s0
	v_cmp_ngt_f32_e64 s0, 0xc2ce8ed0, v97
	s_delay_alu instid0(VALU_DEP_1) | instskip(SKIP_1) | instid1(VALU_DEP_1)
	v_cndmask_b32_e64 v112, 0, v112, s0
	v_cmp_nlt_f32_e64 s0, 0x42b17218, v31
	v_cndmask_b32_e64 v30, 0x7f800000, v99, s0
	v_cmp_ngt_f32_e64 s0, 0xc2ce8ed0, v98
	s_delay_alu instid0(VALU_DEP_2) | instskip(NEXT) | instid1(VALU_DEP_2)
	v_fmac_f32_e32 v22, v72, v30
	v_cndmask_b32_e64 v99, 0, v113, s0
	v_cmp_nlt_f32_e64 s0, 0x42b17218, v36
	v_mul_f32_e32 v36, v21, v23
	v_mul_f32_e32 v23, v21, v24
	;; [unrolled: 1-line block ×3, first 2 shown]
	s_waitcnt lgkmcnt(6)
	v_mul_f32_e32 v25, v21, v26
	v_cndmask_b32_e64 v31, 0x7f800000, v100, s0
	v_cmp_nlt_f32_e64 s0, 0x42b17218, v56
	s_waitcnt lgkmcnt(3)
	v_fma_f32 v56, v67, v22, 0
	v_mul_f32_e32 v26, v21, v27
	v_mul_f32_e32 v27, v21, v28
	v_fmac_f32_e32 v36, v73, v31
	v_cndmask_b32_e64 v30, 0x7f800000, v101, s0
	v_cmp_nlt_f32_e64 s0, 0x42b17218, v86
	v_mul_f32_e32 v28, v21, v29
	s_delay_alu instid0(VALU_DEP_4) | instskip(NEXT) | instid1(VALU_DEP_4)
	v_dual_mul_f32 v29, v21, v51 :: v_dual_fmac_f32 v56, v68, v36
	v_fmac_f32_e32 v23, v57, v30
	s_delay_alu instid0(VALU_DEP_4) | instskip(SKIP_1) | instid1(VALU_DEP_3)
	v_cndmask_b32_e64 v31, 0x7f800000, v102, s0
	v_cmp_nlt_f32_e64 s0, 0x42b17218, v87
	v_fmac_f32_e32 v56, v69, v23
	s_delay_alu instid0(VALU_DEP_3) | instskip(NEXT) | instid1(VALU_DEP_3)
	v_fmac_f32_e32 v24, v71, v31
	v_cndmask_b32_e64 v30, 0x7f800000, v103, s0
	v_cmp_nlt_f32_e64 s0, 0x42b17218, v88
	s_delay_alu instid0(VALU_DEP_2) | instskip(NEXT) | instid1(VALU_DEP_2)
	v_dual_fmac_f32 v56, v70, v24 :: v_dual_fmac_f32 v25, v37, v30
	v_cndmask_b32_e64 v31, 0x7f800000, v104, s0
	v_cmp_nlt_f32_e64 s0, 0x42b17218, v89
	s_waitcnt lgkmcnt(2)
	s_delay_alu instid0(VALU_DEP_3) | instskip(NEXT) | instid1(VALU_DEP_3)
	v_fmac_f32_e32 v56, v74, v25
	v_fmac_f32_e32 v26, v38, v31
	s_delay_alu instid0(VALU_DEP_3) | instskip(SKIP_1) | instid1(VALU_DEP_3)
	v_cndmask_b32_e64 v30, 0x7f800000, v105, s0
	v_cmp_nlt_f32_e64 s0, 0x42b17218, v90
	v_fmac_f32_e32 v56, v75, v26
	s_delay_alu instid0(VALU_DEP_3) | instskip(NEXT) | instid1(VALU_DEP_3)
	v_fmac_f32_e32 v27, v39, v30
	v_cndmask_b32_e64 v31, 0x7f800000, v106, s0
	v_cmp_nlt_f32_e64 s0, 0x42b17218, v91
	v_mul_f32_e32 v30, v21, v52
	s_delay_alu instid0(VALU_DEP_4) | instskip(NEXT) | instid1(VALU_DEP_4)
	v_fmac_f32_e32 v56, v76, v27
	v_fmac_f32_e32 v28, v33, v31
	s_delay_alu instid0(VALU_DEP_4) | instskip(SKIP_2) | instid1(VALU_DEP_4)
	v_cndmask_b32_e64 v32, 0x7f800000, v107, s0
	v_cmp_nlt_f32_e64 s0, 0x42b17218, v92
	v_mul_f32_e32 v31, v21, v53
	v_fmac_f32_e32 v56, v77, v28
	s_delay_alu instid0(VALU_DEP_4) | instskip(NEXT) | instid1(VALU_DEP_4)
	v_fmac_f32_e32 v29, v34, v32
	v_cndmask_b32_e64 v33, 0x7f800000, v108, s0
	v_cmp_nlt_f32_e64 s0, 0x42b17218, v93
	v_mul_f32_e32 v32, v21, v54
	s_waitcnt lgkmcnt(1)
	v_fmac_f32_e32 v56, v78, v29
	v_fmac_f32_e32 v30, v35, v33
	v_cndmask_b32_e64 v34, 0x7f800000, v109, s0
	v_cmp_nlt_f32_e64 s0, 0x42b17218, v94
	s_delay_alu instid0(VALU_DEP_3) | instskip(NEXT) | instid1(VALU_DEP_3)
	v_dual_mul_f32 v33, v21, v63 :: v_dual_fmac_f32 v56, v79, v30
	v_fmac_f32_e32 v31, v40, v34
	s_delay_alu instid0(VALU_DEP_3) | instskip(SKIP_2) | instid1(VALU_DEP_4)
	v_cndmask_b32_e64 v35, 0x7f800000, v110, s0
	v_cmp_nlt_f32_e64 s0, 0x42b17218, v95
	v_mul_f32_e32 v34, v21, v64
	v_fmac_f32_e32 v56, v80, v31
	s_delay_alu instid0(VALU_DEP_4) | instskip(NEXT) | instid1(VALU_DEP_4)
	v_fmac_f32_e32 v32, v58, v35
	v_cndmask_b32_e64 v37, 0x7f800000, v111, s0
	v_cmp_nlt_f32_e64 s0, 0x42b17218, v96
	v_mul_f32_e32 v35, v21, v65
	v_mul_f32_e32 v21, v21, v66
	s_delay_alu instid0(VALU_DEP_4) | instskip(NEXT) | instid1(VALU_DEP_4)
	v_dual_fmac_f32 v56, v81, v32 :: v_dual_fmac_f32 v33, v59, v37
	v_cndmask_b32_e64 v38, 0x7f800000, v114, s0
	v_cmp_nlt_f32_e64 s0, 0x42b17218, v97
	s_waitcnt lgkmcnt(0)
	s_delay_alu instid0(VALU_DEP_3) | instskip(NEXT) | instid1(VALU_DEP_3)
	v_fmac_f32_e32 v56, v82, v33
	v_fmac_f32_e32 v34, v60, v38
	s_delay_alu instid0(VALU_DEP_3) | instskip(SKIP_1) | instid1(VALU_DEP_2)
	v_cndmask_b32_e64 v37, 0x7f800000, v112, s0
	v_cmp_nlt_f32_e64 s0, 0x42b17218, v98
	v_dual_fmac_f32 v56, v83, v34 :: v_dual_fmac_f32 v35, v61, v37
	s_delay_alu instid0(VALU_DEP_2) | instskip(NEXT) | instid1(VALU_DEP_1)
	v_cndmask_b32_e64 v38, 0x7f800000, v99, s0
	v_dual_fmac_f32 v56, v84, v35 :: v_dual_fmac_f32 v21, v62, v38
	v_mad_i64_i32 v[37:38], null, s12, 12, v[47:48]
	s_delay_alu instid0(VALU_DEP_2)
	v_fmac_f32_e32 v56, v85, v21
	global_store_b32 v[37:38], v56, off
	s_waitcnt_vscnt null, 0x0
	s_barrier
	buffer_gl0_inv
	s_and_saveexec_b32 s1, vcc_lo
	s_cbranch_execz .LBB9_18
; %bb.17:
	s_lshl_b64 s[22:23], s[2:3], 4
	s_delay_alu instid0(SALU_CYCLE_1) | instskip(NEXT) | instid1(VALU_DEP_1)
	v_add_co_u32 v37, s0, v43, s22
	v_add_co_ci_u32_e64 v38, s0, s23, v44, s0
	s_lshl_b64 s[22:23], s[10:11], 4
	s_delay_alu instid0(SALU_CYCLE_1) | instskip(NEXT) | instid1(VALU_DEP_1)
	v_add_co_u32 v39, s0, v45, s22
	v_add_co_ci_u32_e64 v40, s0, s23, v46, s0
	global_load_b32 v37, v[37:38], off
	global_load_b32 v38, v[39:40], off
	s_waitcnt vmcnt(1)
	ds_store_b32 v55, v37
	s_waitcnt vmcnt(0)
	ds_store_b32 v0, v38
.LBB9_18:
	s_or_b32 exec_lo, exec_lo, s1
	v_add_co_u32 v17, s0, v17, s8
	s_delay_alu instid0(VALU_DEP_1)
	v_add_co_ci_u32_e64 v18, s0, s9, v18, s0
	s_waitcnt lgkmcnt(0)
	s_barrier
	buffer_gl0_inv
	global_load_b32 v37, v[17:18], off
	s_mov_b32 s3, exec_lo
	s_waitcnt vmcnt(0)
	v_cmpx_ge_f32_e32 0x41a00000, v37
	s_cbranch_execz .LBB9_20
; %bb.19:
	v_mul_f32_e32 v38, 0x3fb8aa3b, v37
	v_cmp_ngt_f32_e64 s0, 0xc2ce8ed0, v37
	s_delay_alu instid0(VALU_DEP_2) | instskip(SKIP_1) | instid1(VALU_DEP_2)
	v_rndne_f32_e32 v39, v38
	v_fma_f32 v40, 0x3fb8aa3b, v37, -v38
	v_sub_f32_e32 v38, v38, v39
	s_delay_alu instid0(VALU_DEP_2) | instskip(SKIP_1) | instid1(VALU_DEP_2)
	v_fmamk_f32 v40, v37, 0x32a5705f, v40
	v_cvt_i32_f32_e32 v39, v39
	v_add_f32_e32 v38, v38, v40
	s_delay_alu instid0(VALU_DEP_1) | instskip(SKIP_2) | instid1(VALU_DEP_1)
	v_exp_f32_e32 v38, v38
	s_waitcnt_depctr 0xfff
	v_ldexp_f32 v38, v38, v39
	v_cndmask_b32_e64 v38, 0, v38, s0
	v_cmp_nlt_f32_e64 s0, 0x42b17218, v37
	s_delay_alu instid0(VALU_DEP_1) | instskip(NEXT) | instid1(VALU_DEP_1)
	v_cndmask_b32_e64 v39, 0x7f800000, v38, s0
	v_add_f32_e32 v40, 1.0, v39
	v_cmp_gt_f32_e64 s1, 0x33800000, v39
	s_delay_alu instid0(VALU_DEP_2) | instskip(NEXT) | instid1(VALU_DEP_1)
	v_cvt_f64_f32_e32 v[37:38], v40
	v_frexp_exp_i32_f64_e32 v37, v[37:38]
	v_frexp_mant_f32_e32 v38, v40
	s_delay_alu instid0(VALU_DEP_1) | instskip(SKIP_1) | instid1(VALU_DEP_1)
	v_cmp_gt_f32_e64 s0, 0x3f2aaaab, v38
	v_add_f32_e32 v38, -1.0, v40
	v_sub_f32_e32 v52, v38, v40
	v_sub_f32_e32 v38, v39, v38
	s_delay_alu instid0(VALU_DEP_2) | instskip(NEXT) | instid1(VALU_DEP_1)
	v_add_f32_e32 v52, 1.0, v52
	v_add_f32_e32 v38, v38, v52
	v_subrev_co_ci_u32_e64 v37, s0, 0, v37, s0
	s_mov_b32 s0, 0x3e9b6dac
	s_delay_alu instid0(VALU_DEP_1) | instskip(SKIP_1) | instid1(VALU_DEP_2)
	v_sub_nc_u32_e32 v51, 0, v37
	v_cvt_f32_i32_e32 v37, v37
	v_ldexp_f32 v40, v40, v51
	v_ldexp_f32 v38, v38, v51
	s_delay_alu instid0(VALU_DEP_2) | instskip(NEXT) | instid1(VALU_DEP_1)
	v_add_f32_e32 v53, 1.0, v40
	v_dual_add_f32 v51, -1.0, v40 :: v_dual_add_f32 v52, -1.0, v53
	s_delay_alu instid0(VALU_DEP_1) | instskip(NEXT) | instid1(VALU_DEP_2)
	v_add_f32_e32 v54, 1.0, v51
	v_sub_f32_e32 v52, v40, v52
	s_delay_alu instid0(VALU_DEP_2) | instskip(NEXT) | instid1(VALU_DEP_2)
	v_sub_f32_e32 v40, v40, v54
	v_add_f32_e32 v52, v38, v52
	s_delay_alu instid0(VALU_DEP_2) | instskip(NEXT) | instid1(VALU_DEP_2)
	v_add_f32_e32 v38, v38, v40
	v_add_f32_e32 v54, v53, v52
	s_delay_alu instid0(VALU_DEP_2) | instskip(NEXT) | instid1(VALU_DEP_2)
	v_add_f32_e32 v56, v51, v38
	v_rcp_f32_e32 v40, v54
	v_sub_f32_e32 v53, v53, v54
	s_delay_alu instid0(VALU_DEP_1) | instskip(SKIP_2) | instid1(VALU_DEP_1)
	v_dual_sub_f32 v51, v51, v56 :: v_dual_add_f32 v52, v52, v53
	s_waitcnt_depctr 0xfff
	v_dual_add_f32 v38, v38, v51 :: v_dual_mul_f32 v57, v56, v40
	v_mul_f32_e32 v58, v54, v57
	s_delay_alu instid0(VALU_DEP_1) | instskip(NEXT) | instid1(VALU_DEP_1)
	v_fma_f32 v53, v57, v54, -v58
	v_fmac_f32_e32 v53, v57, v52
	s_delay_alu instid0(VALU_DEP_1) | instskip(NEXT) | instid1(VALU_DEP_1)
	v_add_f32_e32 v59, v58, v53
	v_dual_sub_f32 v60, v56, v59 :: v_dual_sub_f32 v51, v59, v58
	s_delay_alu instid0(VALU_DEP_1) | instskip(NEXT) | instid1(VALU_DEP_1)
	v_dual_sub_f32 v56, v56, v60 :: v_dual_sub_f32 v51, v51, v53
	v_sub_f32_e32 v56, v56, v59
	s_delay_alu instid0(VALU_DEP_1) | instskip(NEXT) | instid1(VALU_DEP_1)
	v_add_f32_e32 v38, v38, v56
	v_add_f32_e32 v38, v51, v38
	s_delay_alu instid0(VALU_DEP_1) | instskip(NEXT) | instid1(VALU_DEP_1)
	v_add_f32_e32 v51, v60, v38
	v_mul_f32_e32 v53, v40, v51
	s_delay_alu instid0(VALU_DEP_1) | instskip(NEXT) | instid1(VALU_DEP_1)
	v_dual_sub_f32 v59, v60, v51 :: v_dual_mul_f32 v56, v54, v53
	v_add_f32_e32 v38, v38, v59
	s_delay_alu instid0(VALU_DEP_2) | instskip(NEXT) | instid1(VALU_DEP_1)
	v_fma_f32 v54, v53, v54, -v56
	v_fmac_f32_e32 v54, v53, v52
	s_delay_alu instid0(VALU_DEP_1) | instskip(NEXT) | instid1(VALU_DEP_1)
	v_add_f32_e32 v52, v56, v54
	v_sub_f32_e32 v58, v51, v52
	s_delay_alu instid0(VALU_DEP_1) | instskip(NEXT) | instid1(VALU_DEP_1)
	v_dual_sub_f32 v56, v52, v56 :: v_dual_sub_f32 v51, v51, v58
	v_dual_sub_f32 v51, v51, v52 :: v_dual_sub_f32 v52, v56, v54
	s_delay_alu instid0(VALU_DEP_1) | instskip(NEXT) | instid1(VALU_DEP_1)
	v_dual_add_f32 v38, v38, v51 :: v_dual_add_f32 v51, v57, v53
	v_add_f32_e32 v38, v52, v38
	s_delay_alu instid0(VALU_DEP_2) | instskip(NEXT) | instid1(VALU_DEP_2)
	v_sub_f32_e32 v52, v51, v57
	v_add_f32_e32 v38, v58, v38
	s_delay_alu instid0(VALU_DEP_2) | instskip(NEXT) | instid1(VALU_DEP_2)
	v_sub_f32_e32 v52, v53, v52
	v_mul_f32_e32 v38, v40, v38
	s_delay_alu instid0(VALU_DEP_1) | instskip(NEXT) | instid1(VALU_DEP_1)
	v_add_f32_e32 v38, v52, v38
	v_add_f32_e32 v40, v51, v38
	s_delay_alu instid0(VALU_DEP_1) | instskip(NEXT) | instid1(VALU_DEP_1)
	v_mul_f32_e32 v52, v40, v40
	v_fmaak_f32 v53, s0, v52, 0x3ecc95a3
	v_mul_f32_e32 v54, v40, v52
	v_cmp_eq_f32_e64 s0, 0x7f800000, v39
	s_delay_alu instid0(VALU_DEP_3) | instskip(SKIP_2) | instid1(VALU_DEP_4)
	v_fmaak_f32 v52, v52, v53, 0x3f2aaada
	v_ldexp_f32 v53, v40, 1
	v_sub_f32_e32 v40, v40, v51
	s_or_b32 s0, s1, s0
	s_delay_alu instid0(VALU_DEP_3) | instskip(SKIP_1) | instid1(VALU_DEP_3)
	v_mul_f32_e32 v52, v54, v52
	v_mul_f32_e32 v54, 0x3f317218, v37
	v_sub_f32_e32 v38, v38, v40
	s_delay_alu instid0(VALU_DEP_3) | instskip(NEXT) | instid1(VALU_DEP_2)
	v_add_f32_e32 v51, v53, v52
	v_ldexp_f32 v38, v38, 1
	s_delay_alu instid0(VALU_DEP_2) | instskip(SKIP_1) | instid1(VALU_DEP_1)
	v_sub_f32_e32 v40, v51, v53
	v_fma_f32 v53, 0x3f317218, v37, -v54
	v_dual_sub_f32 v40, v52, v40 :: v_dual_fmamk_f32 v37, v37, 0xb102e308, v53
	s_delay_alu instid0(VALU_DEP_1) | instskip(NEXT) | instid1(VALU_DEP_2)
	v_add_f32_e32 v38, v38, v40
	v_add_f32_e32 v40, v54, v37
	s_delay_alu instid0(VALU_DEP_2) | instskip(NEXT) | instid1(VALU_DEP_2)
	v_add_f32_e32 v52, v51, v38
	v_sub_f32_e32 v54, v40, v54
	s_delay_alu instid0(VALU_DEP_2) | instskip(SKIP_1) | instid1(VALU_DEP_3)
	v_add_f32_e32 v53, v40, v52
	v_sub_f32_e32 v51, v52, v51
	v_sub_f32_e32 v37, v37, v54
	s_delay_alu instid0(VALU_DEP_3) | instskip(NEXT) | instid1(VALU_DEP_1)
	v_sub_f32_e32 v56, v53, v40
	v_dual_sub_f32 v38, v38, v51 :: v_dual_sub_f32 v57, v53, v56
	s_delay_alu instid0(VALU_DEP_1) | instskip(NEXT) | instid1(VALU_DEP_2)
	v_dual_sub_f32 v51, v52, v56 :: v_dual_add_f32 v52, v37, v38
	v_sub_f32_e32 v40, v40, v57
	s_delay_alu instid0(VALU_DEP_1) | instskip(NEXT) | instid1(VALU_DEP_1)
	v_dual_add_f32 v40, v51, v40 :: v_dual_sub_f32 v51, v52, v37
	v_add_f32_e32 v40, v52, v40
	s_delay_alu instid0(VALU_DEP_2) | instskip(SKIP_1) | instid1(VALU_DEP_3)
	v_sub_f32_e32 v52, v52, v51
	v_sub_f32_e32 v38, v38, v51
	v_add_f32_e32 v54, v53, v40
	s_delay_alu instid0(VALU_DEP_3) | instskip(NEXT) | instid1(VALU_DEP_2)
	v_sub_f32_e32 v37, v37, v52
	v_sub_f32_e32 v51, v54, v53
	s_delay_alu instid0(VALU_DEP_1) | instskip(NEXT) | instid1(VALU_DEP_1)
	v_dual_add_f32 v37, v38, v37 :: v_dual_sub_f32 v38, v40, v51
	v_add_f32_e32 v37, v37, v38
	s_delay_alu instid0(VALU_DEP_1) | instskip(NEXT) | instid1(VALU_DEP_1)
	v_add_f32_e32 v37, v54, v37
	v_cndmask_b32_e64 v37, v37, v39, s0
.LBB9_20:
	s_or_b32 exec_lo, exec_lo, s3
	v_add_co_u32 v19, s0, v19, s16
	s_delay_alu instid0(VALU_DEP_1) | instskip(NEXT) | instid1(VALU_DEP_3)
	v_add_co_ci_u32_e64 v20, s0, s17, v20, s0
	v_dual_mul_f32 v39, v37, v13 :: v_dual_mov_b32 v40, 0
	v_mul_f32_e32 v84, v37, v14
	global_load_b32 v38, v[19:20], off
	ds_load_b128 v[51:54], v40
	ds_load_b128 v[56:59], v40 offset:16
	ds_load_b128 v[60:63], v40 offset:32
	;; [unrolled: 1-line block ×3, first 2 shown]
	v_mul_f32_e32 v99, 0x3fb8aa3b, v39
	v_dual_mul_f32 v85, v37, v15 :: v_dual_mul_f32 v100, 0x3fb8aa3b, v84
	v_mul_f32_e32 v86, v37, v16
	ds_load_b128 v[68:71], v40 offset:64
	ds_load_b128 v[72:75], v40 offset:80
	v_rndne_f32_e32 v115, v99
	v_mul_f32_e32 v101, 0x3fb8aa3b, v85
	v_dual_mul_f32 v87, v37, v9 :: v_dual_mul_f32 v102, 0x3fb8aa3b, v86
	v_mul_f32_e32 v88, v37, v10
	v_mul_f32_e32 v98, v37, v4
	ds_load_b128 v[76:79], v40 offset:96
	ds_load_b128 v[80:83], v40 offset:112
	v_mul_f32_e32 v103, 0x3fb8aa3b, v87
	v_dual_mul_f32 v89, v37, v11 :: v_dual_mul_f32 v104, 0x3fb8aa3b, v88
	v_mul_f32_e32 v90, v37, v12
	v_fma_f32 v114, 0x3fb8aa3b, v39, -v99
	v_sub_f32_e32 v99, v99, v115
	s_delay_alu instid0(VALU_DEP_4) | instskip(NEXT) | instid1(VALU_DEP_4)
	v_mul_f32_e32 v105, 0x3fb8aa3b, v89
	v_dual_mul_f32 v91, v37, v5 :: v_dual_mul_f32 v106, 0x3fb8aa3b, v90
	v_mul_f32_e32 v92, v37, v6
	v_fma_f32 v116, 0x3fb8aa3b, v84, -v100
	v_rndne_f32_e32 v117, v100
	s_delay_alu instid0(VALU_DEP_4) | instskip(NEXT) | instid1(VALU_DEP_4)
	v_mul_f32_e32 v107, 0x3fb8aa3b, v91
	v_dual_mul_f32 v93, v37, v7 :: v_dual_mul_f32 v108, 0x3fb8aa3b, v92
	v_mul_f32_e32 v94, v37, v8
	v_fma_f32 v122, 0x3fb8aa3b, v87, -v103
	v_mul_f32_e32 v113, 0x3fb8aa3b, v98
	s_delay_alu instid0(VALU_DEP_4) | instskip(NEXT) | instid1(VALU_DEP_4)
	v_mul_f32_e32 v109, 0x3fb8aa3b, v93
	v_dual_mul_f32 v95, v37, v1 :: v_dual_mul_f32 v110, 0x3fb8aa3b, v94
	v_mul_f32_e32 v96, v37, v2
	s_delay_alu instid0(VALU_DEP_4) | instskip(SKIP_1) | instid1(VALU_DEP_4)
	v_rndne_f32_e32 v145, v113
	v_fmac_f32_e32 v114, 0x32a5705f, v39
	v_mul_f32_e32 v111, 0x3fb8aa3b, v95
	s_delay_alu instid0(VALU_DEP_4) | instskip(SKIP_3) | instid1(VALU_DEP_4)
	v_dual_mul_f32 v97, v37, v3 :: v_dual_mul_f32 v40, 0x3fb8aa3b, v96
	v_fma_f32 v118, 0x3fb8aa3b, v85, -v101
	v_rndne_f32_e32 v119, v101
	v_rndne_f32_e32 v123, v103
	v_mul_f32_e32 v112, 0x3fb8aa3b, v97
	v_fma_f32 v144, 0x3fb8aa3b, v98, -v113
	s_delay_alu instid0(VALU_DEP_4) | instskip(NEXT) | instid1(VALU_DEP_4)
	v_dual_fmac_f32 v116, 0x32a5705f, v84 :: v_dual_sub_f32 v101, v101, v119
	v_dual_sub_f32 v100, v100, v117 :: v_dual_sub_f32 v103, v103, v123
	v_dual_sub_f32 v113, v113, v145 :: v_dual_fmac_f32 v122, 0x32a5705f, v87
	v_add_f32_e32 v99, v99, v114
	v_fma_f32 v120, 0x3fb8aa3b, v86, -v102
	v_rndne_f32_e32 v121, v102
	v_rndne_f32_e32 v125, v104
	v_rndne_f32_e32 v127, v105
	v_fmac_f32_e32 v118, 0x32a5705f, v85
	v_add_f32_e32 v100, v100, v116
	v_exp_f32_e32 v99, v99
	v_fma_f32 v124, 0x3fb8aa3b, v88, -v104
	v_fma_f32 v126, 0x3fb8aa3b, v89, -v105
	v_rndne_f32_e32 v131, v107
	v_rndne_f32_e32 v135, v109
	v_cvt_i32_f32_e32 v115, v115
	v_fmac_f32_e32 v120, 0x32a5705f, v86
	v_dual_sub_f32 v102, v102, v121 :: v_dual_sub_f32 v105, v105, v127
	v_dual_sub_f32 v104, v104, v125 :: v_dual_add_f32 v101, v101, v118
	v_exp_f32_e32 v100, v100
	v_fma_f32 v130, 0x3fb8aa3b, v91, -v107
	v_fma_f32 v134, 0x3fb8aa3b, v93, -v109
	v_cvt_i32_f32_e32 v117, v117
	v_sub_f32_e32 v107, v107, v131
	v_dual_sub_f32 v109, v109, v135 :: v_dual_add_f32 v102, v102, v120
	v_exp_f32_e32 v101, v101
	v_ldexp_f32 v99, v99, v115
	v_cmp_ngt_f32_e64 s0, 0xc2ce8ed0, v39
	v_rndne_f32_e32 v139, v111
	v_cvt_i32_f32_e32 v119, v119
	v_fmac_f32_e32 v124, 0x32a5705f, v88
	v_dual_fmac_f32 v126, 0x32a5705f, v89 :: v_dual_add_f32 v103, v103, v122
	v_exp_f32_e32 v102, v102
	v_ldexp_f32 v100, v100, v117
	v_cndmask_b32_e64 v99, 0, v99, s0
	v_cmp_ngt_f32_e64 s0, 0xc2ce8ed0, v84
	v_fma_f32 v128, 0x3fb8aa3b, v90, -v106
	v_rndne_f32_e32 v129, v106
	v_fma_f32 v138, 0x3fb8aa3b, v95, -v111
	v_cvt_i32_f32_e32 v121, v121
	v_sub_f32_e32 v111, v111, v139
	v_exp_f32_e32 v103, v103
	v_ldexp_f32 v101, v101, v119
	v_cndmask_b32_e64 v100, 0, v100, s0
	v_cmp_ngt_f32_e64 s0, 0xc2ce8ed0, v85
	v_cvt_i32_f32_e32 v123, v123
	v_dual_sub_f32 v106, v106, v129 :: v_dual_add_f32 v105, v105, v126
	v_ldexp_f32 v102, v102, v121
	s_delay_alu instid0(VALU_DEP_4)
	v_cndmask_b32_e64 v101, 0, v101, s0
	v_cmp_ngt_f32_e64 s0, 0xc2ce8ed0, v86
	v_fma_f32 v132, 0x3fb8aa3b, v92, -v108
	v_rndne_f32_e32 v133, v108
	v_cvt_i32_f32_e32 v125, v125
	v_exp_f32_e32 v105, v105
	v_ldexp_f32 v103, v103, v123
	v_cndmask_b32_e64 v102, 0, v102, s0
	v_cmp_ngt_f32_e64 s0, 0xc2ce8ed0, v87
	v_cvt_i32_f32_e32 v127, v127
	v_fma_f32 v136, 0x3fb8aa3b, v94, -v110
	v_rndne_f32_e32 v137, v110
	v_cvt_i32_f32_e32 v129, v129
	v_cndmask_b32_e64 v103, 0, v103, s0
	v_cmp_ngt_f32_e64 s0, 0xc2ce8ed0, v88
	v_ldexp_f32 v105, v105, v127
	v_cvt_i32_f32_e32 v131, v131
	v_sub_f32_e32 v110, v110, v137
	v_fma_f32 v140, 0x3fb8aa3b, v96, -v40
	v_rndne_f32_e32 v141, v40
	v_fma_f32 v142, 0x3fb8aa3b, v97, -v112
	v_rndne_f32_e32 v143, v112
	v_cvt_i32_f32_e32 v135, v135
	v_fmac_f32_e32 v140, 0x32a5705f, v96
	v_cvt_i32_f32_e32 v137, v137
	v_cvt_i32_f32_e32 v139, v139
	v_sub_f32_e32 v112, v112, v143
	v_cvt_i32_f32_e32 v143, v143
	v_cvt_i32_f32_e32 v145, v145
	s_waitcnt vmcnt(0)
	v_mul_f32_e32 v114, v37, v38
	v_add_f32_e32 v104, v104, v124
	v_fmac_f32_e32 v144, 0x32a5705f, v98
	v_fmac_f32_e32 v128, 0x32a5705f, v90
	s_waitcnt lgkmcnt(7)
	v_dual_fmac_f32 v134, 0x32a5705f, v93 :: v_dual_mul_f32 v37, v114, v51
	v_exp_f32_e32 v104, v104
	v_dual_fmac_f32 v130, 0x32a5705f, v91 :: v_dual_add_f32 v113, v113, v144
	s_delay_alu instid0(VALU_DEP_2) | instskip(NEXT) | instid1(VALU_DEP_2)
	v_dual_add_f32 v109, v109, v134 :: v_dual_add_f32 v106, v106, v128
	v_dual_fmac_f32 v132, 0x32a5705f, v92 :: v_dual_add_f32 v107, v107, v130
	v_fmac_f32_e32 v138, 0x32a5705f, v95
	v_sub_f32_e32 v108, v108, v133
	s_delay_alu instid0(VALU_DEP_4) | instskip(NEXT) | instid1(TRANS32_DEP_2)
	v_exp_f32_e32 v106, v106
	v_ldexp_f32 v104, v104, v125
	v_exp_f32_e32 v107, v107
	s_delay_alu instid0(VALU_DEP_2) | instskip(SKIP_1) | instid1(VALU_DEP_3)
	v_dual_add_f32 v111, v111, v138 :: v_dual_add_f32 v108, v108, v132
	v_fmac_f32_e32 v136, 0x32a5705f, v94
	v_cndmask_b32_e64 v104, 0, v104, s0
	v_cmp_ngt_f32_e64 s0, 0xc2ce8ed0, v89
	v_cvt_i32_f32_e32 v133, v133
	v_exp_f32_e32 v108, v108
	s_delay_alu instid0(TRANS32_DEP_3)
	v_ldexp_f32 v106, v106, v129
	v_add_f32_e32 v110, v110, v136
	v_cndmask_b32_e64 v105, 0, v105, s0
	v_cmp_ngt_f32_e64 s0, 0xc2ce8ed0, v90
	v_exp_f32_e32 v109, v109
	v_ldexp_f32 v107, v107, v131
	v_sub_f32_e32 v40, v40, v141
	v_exp_f32_e32 v110, v110
	v_cndmask_b32_e64 v106, 0, v106, s0
	v_cmp_ngt_f32_e64 s0, 0xc2ce8ed0, v91
	v_ldexp_f32 v108, v108, v133
	v_fmac_f32_e32 v142, 0x32a5705f, v97
	v_add_f32_e32 v40, v40, v140
	v_exp_f32_e32 v111, v111
	v_cndmask_b32_e64 v107, 0, v107, s0
	v_cmp_ngt_f32_e64 s0, 0xc2ce8ed0, v92
	v_ldexp_f32 v109, v109, v135
	v_add_f32_e32 v112, v112, v142
	v_exp_f32_e32 v40, v40
	v_ldexp_f32 v110, v110, v137
	v_cndmask_b32_e64 v108, 0, v108, s0
	v_cmp_ngt_f32_e64 s0, 0xc2ce8ed0, v93
	v_cvt_i32_f32_e32 v141, v141
	v_exp_f32_e32 v112, v112
	v_ldexp_f32 v111, v111, v139
	v_exp_f32_e32 v113, v113
	v_cndmask_b32_e64 v109, 0, v109, s0
	v_cmp_ngt_f32_e64 s0, 0xc2ce8ed0, v94
	v_ldexp_f32 v40, v40, v141
	s_delay_alu instid0(VALU_DEP_2) | instskip(SKIP_1) | instid1(TRANS32_DEP_2)
	v_cndmask_b32_e64 v110, 0, v110, s0
	v_cmp_ngt_f32_e64 s0, 0xc2ce8ed0, v95
	v_ldexp_f32 v112, v112, v143
	s_delay_alu instid0(TRANS32_DEP_1) | instskip(NEXT) | instid1(VALU_DEP_3)
	v_ldexp_f32 v113, v113, v145
	v_cndmask_b32_e64 v111, 0, v111, s0
	v_cmp_ngt_f32_e64 s0, 0xc2ce8ed0, v96
	s_delay_alu instid0(VALU_DEP_1) | instskip(SKIP_1) | instid1(VALU_DEP_1)
	v_cndmask_b32_e64 v40, 0, v40, s0
	v_cmp_ngt_f32_e64 s0, 0xc2ce8ed0, v97
	v_cndmask_b32_e64 v112, 0, v112, s0
	v_cmp_nlt_f32_e64 s0, 0x42b17218, v39
	v_mul_f32_e32 v39, v114, v52
	s_delay_alu instid0(VALU_DEP_2) | instskip(SKIP_1) | instid1(VALU_DEP_2)
	v_cndmask_b32_e64 v38, 0x7f800000, v99, s0
	v_cmp_ngt_f32_e64 s0, 0xc2ce8ed0, v98
	v_fmac_f32_e32 v37, v22, v38
	s_delay_alu instid0(VALU_DEP_2) | instskip(SKIP_4) | instid1(VALU_DEP_3)
	v_cndmask_b32_e64 v51, 0, v113, s0
	v_cmp_nlt_f32_e64 s0, 0x42b17218, v84
	v_mul_f32_e32 v38, v114, v53
	s_waitcnt lgkmcnt(3)
	v_fma_f32 v52, v68, v37, 0
	v_cndmask_b32_e64 v84, 0x7f800000, v100, s0
	v_cmp_nlt_f32_e64 s0, 0x42b17218, v85
	s_delay_alu instid0(VALU_DEP_2) | instskip(NEXT) | instid1(VALU_DEP_2)
	v_fmac_f32_e32 v39, v36, v84
	v_cndmask_b32_e64 v22, 0x7f800000, v101, s0
	v_cmp_nlt_f32_e64 s0, 0x42b17218, v86
	v_mul_f32_e32 v36, v114, v54
	s_delay_alu instid0(VALU_DEP_4) | instskip(NEXT) | instid1(VALU_DEP_4)
	v_fmac_f32_e32 v52, v69, v39
	v_fmac_f32_e32 v38, v23, v22
	s_delay_alu instid0(VALU_DEP_4) | instskip(SKIP_2) | instid1(VALU_DEP_4)
	v_cndmask_b32_e64 v53, 0x7f800000, v102, s0
	v_cmp_nlt_f32_e64 s0, 0x42b17218, v87
	v_mul_f32_e32 v23, v114, v56
	v_fmac_f32_e32 v52, v70, v38
	s_delay_alu instid0(VALU_DEP_4) | instskip(NEXT) | instid1(VALU_DEP_4)
	v_fmac_f32_e32 v36, v24, v53
	v_cndmask_b32_e64 v22, 0x7f800000, v103, s0
	v_cmp_nlt_f32_e64 s0, 0x42b17218, v88
	v_mul_f32_e32 v24, v114, v57
	s_delay_alu instid0(VALU_DEP_3) | instskip(NEXT) | instid1(VALU_DEP_3)
	v_dual_fmac_f32 v52, v71, v36 :: v_dual_fmac_f32 v23, v25, v22
	v_cndmask_b32_e64 v53, 0x7f800000, v104, s0
	v_cmp_nlt_f32_e64 s0, 0x42b17218, v89
	s_waitcnt lgkmcnt(2)
	s_delay_alu instid0(VALU_DEP_3) | instskip(NEXT) | instid1(VALU_DEP_3)
	v_dual_mul_f32 v25, v114, v58 :: v_dual_fmac_f32 v52, v72, v23
	v_fmac_f32_e32 v24, v26, v53
	s_delay_alu instid0(VALU_DEP_3) | instskip(SKIP_2) | instid1(VALU_DEP_3)
	v_cndmask_b32_e64 v22, 0x7f800000, v105, s0
	v_cmp_nlt_f32_e64 s0, 0x42b17218, v90
	v_mul_f32_e32 v26, v114, v59
	v_dual_fmac_f32 v52, v73, v24 :: v_dual_fmac_f32 v25, v27, v22
	s_delay_alu instid0(VALU_DEP_3) | instskip(SKIP_2) | instid1(VALU_DEP_4)
	v_cndmask_b32_e64 v53, 0x7f800000, v106, s0
	v_cmp_nlt_f32_e64 s0, 0x42b17218, v91
	v_mul_f32_e32 v27, v114, v60
	v_fmac_f32_e32 v52, v74, v25
	s_delay_alu instid0(VALU_DEP_4) | instskip(NEXT) | instid1(VALU_DEP_4)
	v_fmac_f32_e32 v26, v28, v53
	v_cndmask_b32_e64 v22, 0x7f800000, v107, s0
	v_cmp_nlt_f32_e64 s0, 0x42b17218, v92
	v_mul_f32_e32 v28, v114, v61
	s_delay_alu instid0(VALU_DEP_4) | instskip(NEXT) | instid1(VALU_DEP_4)
	v_fmac_f32_e32 v52, v75, v26
	v_fmac_f32_e32 v27, v29, v22
	s_delay_alu instid0(VALU_DEP_4) | instskip(SKIP_2) | instid1(VALU_DEP_3)
	v_cndmask_b32_e64 v53, 0x7f800000, v108, s0
	v_cmp_nlt_f32_e64 s0, 0x42b17218, v93
	s_waitcnt lgkmcnt(1)
	v_dual_mul_f32 v29, v114, v62 :: v_dual_fmac_f32 v52, v76, v27
	s_delay_alu instid0(VALU_DEP_3) | instskip(NEXT) | instid1(VALU_DEP_3)
	v_fmac_f32_e32 v28, v30, v53
	v_cndmask_b32_e64 v22, 0x7f800000, v109, s0
	v_cmp_nlt_f32_e64 s0, 0x42b17218, v94
	v_mul_f32_e32 v30, v114, v63
	s_delay_alu instid0(VALU_DEP_3) | instskip(SKIP_1) | instid1(VALU_DEP_4)
	v_dual_fmac_f32 v52, v77, v28 :: v_dual_fmac_f32 v29, v31, v22
	v_mul_f32_e32 v31, v114, v64
	v_cndmask_b32_e64 v53, 0x7f800000, v110, s0
	v_cmp_nlt_f32_e64 s0, 0x42b17218, v95
	s_delay_alu instid0(VALU_DEP_4) | instskip(NEXT) | instid1(VALU_DEP_3)
	v_fmac_f32_e32 v52, v78, v29
	v_fmac_f32_e32 v30, v32, v53
	s_delay_alu instid0(VALU_DEP_3) | instskip(SKIP_2) | instid1(VALU_DEP_4)
	v_cndmask_b32_e64 v22, 0x7f800000, v111, s0
	v_cmp_nlt_f32_e64 s0, 0x42b17218, v96
	v_mul_f32_e32 v32, v114, v65
	v_fmac_f32_e32 v52, v79, v30
	s_delay_alu instid0(VALU_DEP_4) | instskip(NEXT) | instid1(VALU_DEP_4)
	v_fmac_f32_e32 v31, v33, v22
	v_cndmask_b32_e64 v40, 0x7f800000, v40, s0
	v_cmp_nlt_f32_e64 s0, 0x42b17218, v97
	s_waitcnt lgkmcnt(0)
	s_delay_alu instid0(VALU_DEP_3) | instskip(NEXT) | instid1(VALU_DEP_3)
	v_dual_mul_f32 v33, v114, v66 :: v_dual_fmac_f32 v52, v80, v31
	v_fmac_f32_e32 v32, v34, v40
	s_delay_alu instid0(VALU_DEP_3) | instskip(SKIP_2) | instid1(VALU_DEP_3)
	v_cndmask_b32_e64 v22, 0x7f800000, v112, s0
	v_cmp_nlt_f32_e64 s0, 0x42b17218, v98
	v_mul_f32_e32 v34, v114, v67
	v_dual_fmac_f32 v52, v81, v32 :: v_dual_fmac_f32 v33, v35, v22
	s_delay_alu instid0(VALU_DEP_3) | instskip(SKIP_1) | instid1(VALU_DEP_2)
	v_cndmask_b32_e64 v40, 0x7f800000, v51, s0
	s_ashr_i64 s[0:1], s[24:25], 28
	v_fmac_f32_e32 v52, v82, v33
	s_delay_alu instid0(VALU_DEP_2) | instskip(SKIP_1) | instid1(VALU_DEP_1)
	v_fmac_f32_e32 v34, v21, v40
	v_add_co_u32 v21, s0, v47, s0
	v_add_co_ci_u32_e64 v22, s0, s1, v48, s0
	s_delay_alu instid0(VALU_DEP_3)
	v_fmac_f32_e32 v52, v83, v34
	global_store_b32 v[21:22], v52, off
	s_waitcnt_vscnt null, 0x0
	s_barrier
	buffer_gl0_inv
	s_and_saveexec_b32 s0, vcc_lo
	s_cbranch_execz .LBB9_22
; %bb.21:
	v_mad_i64_i32 v[21:22], null, s2, 20, v[43:44]
	v_mad_i64_i32 v[51:52], null, s10, 20, v[45:46]
	global_load_b32 v21, v[21:22], off
	global_load_b32 v22, v[51:52], off
	s_waitcnt vmcnt(1)
	ds_store_b32 v55, v21
	s_waitcnt vmcnt(0)
	ds_store_b32 v0, v22
.LBB9_22:
	s_or_b32 exec_lo, exec_lo, s0
	v_add_co_u32 v17, s0, v17, s8
	s_delay_alu instid0(VALU_DEP_1)
	v_add_co_ci_u32_e64 v18, s0, s9, v18, s0
	s_waitcnt lgkmcnt(0)
	s_barrier
	buffer_gl0_inv
	global_load_b32 v35, v[17:18], off
	s_mov_b32 s3, exec_lo
	s_waitcnt vmcnt(0)
	v_cmpx_ge_f32_e32 0x41a00000, v35
	s_cbranch_execz .LBB9_24
; %bb.23:
	v_mul_f32_e32 v21, 0x3fb8aa3b, v35
	v_cmp_ngt_f32_e64 s0, 0xc2ce8ed0, v35
	s_delay_alu instid0(VALU_DEP_2) | instskip(SKIP_1) | instid1(VALU_DEP_1)
	v_rndne_f32_e32 v22, v21
	v_fma_f32 v40, 0x3fb8aa3b, v35, -v21
	v_dual_sub_f32 v21, v21, v22 :: v_dual_fmamk_f32 v40, v35, 0x32a5705f, v40
	v_cvt_i32_f32_e32 v22, v22
	s_delay_alu instid0(VALU_DEP_2) | instskip(NEXT) | instid1(VALU_DEP_1)
	v_add_f32_e32 v21, v21, v40
	v_exp_f32_e32 v21, v21
	s_waitcnt_depctr 0xfff
	v_ldexp_f32 v21, v21, v22
	s_delay_alu instid0(VALU_DEP_1) | instskip(SKIP_1) | instid1(VALU_DEP_1)
	v_cndmask_b32_e64 v21, 0, v21, s0
	v_cmp_nlt_f32_e64 s0, 0x42b17218, v35
	v_cndmask_b32_e64 v35, 0x7f800000, v21, s0
	s_delay_alu instid0(VALU_DEP_1) | instskip(SKIP_1) | instid1(VALU_DEP_2)
	v_add_f32_e32 v40, 1.0, v35
	v_cmp_gt_f32_e64 s1, 0x33800000, v35
	v_cvt_f64_f32_e32 v[21:22], v40
	s_delay_alu instid0(VALU_DEP_1) | instskip(SKIP_1) | instid1(VALU_DEP_1)
	v_frexp_exp_i32_f64_e32 v21, v[21:22]
	v_frexp_mant_f32_e32 v22, v40
	v_cmp_gt_f32_e64 s0, 0x3f2aaaab, v22
	v_add_f32_e32 v22, -1.0, v40
	s_delay_alu instid0(VALU_DEP_1) | instskip(NEXT) | instid1(VALU_DEP_1)
	v_sub_f32_e32 v52, v22, v40
	v_add_f32_e32 v52, 1.0, v52
	s_delay_alu instid0(VALU_DEP_4) | instskip(SKIP_1) | instid1(VALU_DEP_1)
	v_subrev_co_ci_u32_e64 v21, s0, 0, v21, s0
	s_mov_b32 s0, 0x3e9b6dac
	v_sub_nc_u32_e32 v51, 0, v21
	v_cvt_f32_i32_e32 v21, v21
	s_delay_alu instid0(VALU_DEP_2) | instskip(NEXT) | instid1(VALU_DEP_1)
	v_ldexp_f32 v40, v40, v51
	v_dual_sub_f32 v22, v35, v22 :: v_dual_add_f32 v53, 1.0, v40
	s_delay_alu instid0(VALU_DEP_1) | instskip(NEXT) | instid1(VALU_DEP_2)
	v_add_f32_e32 v22, v22, v52
	v_add_f32_e32 v52, -1.0, v53
	s_delay_alu instid0(VALU_DEP_2) | instskip(SKIP_1) | instid1(VALU_DEP_3)
	v_ldexp_f32 v22, v22, v51
	v_add_f32_e32 v51, -1.0, v40
	v_sub_f32_e32 v52, v40, v52
	s_delay_alu instid0(VALU_DEP_2) | instskip(NEXT) | instid1(VALU_DEP_2)
	v_add_f32_e32 v54, 1.0, v51
	v_add_f32_e32 v52, v22, v52
	s_delay_alu instid0(VALU_DEP_2) | instskip(NEXT) | instid1(VALU_DEP_2)
	v_sub_f32_e32 v40, v40, v54
	v_add_f32_e32 v54, v53, v52
	s_delay_alu instid0(VALU_DEP_2) | instskip(NEXT) | instid1(VALU_DEP_2)
	v_add_f32_e32 v22, v22, v40
	v_rcp_f32_e32 v40, v54
	v_sub_f32_e32 v53, v53, v54
	s_delay_alu instid0(VALU_DEP_2) | instskip(NEXT) | instid1(VALU_DEP_1)
	v_add_f32_e32 v56, v51, v22
	v_dual_add_f32 v52, v52, v53 :: v_dual_sub_f32 v51, v51, v56
	s_waitcnt_depctr 0xfff
	v_dual_mul_f32 v57, v56, v40 :: v_dual_add_f32 v22, v22, v51
	s_delay_alu instid0(VALU_DEP_1) | instskip(NEXT) | instid1(VALU_DEP_1)
	v_mul_f32_e32 v58, v54, v57
	v_fma_f32 v53, v57, v54, -v58
	s_delay_alu instid0(VALU_DEP_1) | instskip(NEXT) | instid1(VALU_DEP_1)
	v_fmac_f32_e32 v53, v57, v52
	v_add_f32_e32 v59, v58, v53
	s_delay_alu instid0(VALU_DEP_1) | instskip(NEXT) | instid1(VALU_DEP_1)
	v_dual_sub_f32 v60, v56, v59 :: v_dual_sub_f32 v51, v59, v58
	v_dual_sub_f32 v56, v56, v60 :: v_dual_sub_f32 v51, v51, v53
	s_delay_alu instid0(VALU_DEP_1) | instskip(NEXT) | instid1(VALU_DEP_1)
	v_sub_f32_e32 v56, v56, v59
	v_add_f32_e32 v22, v22, v56
	s_delay_alu instid0(VALU_DEP_1) | instskip(NEXT) | instid1(VALU_DEP_1)
	v_add_f32_e32 v22, v51, v22
	v_add_f32_e32 v51, v60, v22
	s_delay_alu instid0(VALU_DEP_1) | instskip(NEXT) | instid1(VALU_DEP_1)
	v_mul_f32_e32 v53, v40, v51
	v_dual_sub_f32 v59, v60, v51 :: v_dual_mul_f32 v56, v54, v53
	s_delay_alu instid0(VALU_DEP_1) | instskip(NEXT) | instid1(VALU_DEP_2)
	v_add_f32_e32 v22, v22, v59
	v_fma_f32 v54, v53, v54, -v56
	s_delay_alu instid0(VALU_DEP_1) | instskip(NEXT) | instid1(VALU_DEP_1)
	v_fmac_f32_e32 v54, v53, v52
	v_add_f32_e32 v52, v56, v54
	s_delay_alu instid0(VALU_DEP_1) | instskip(NEXT) | instid1(VALU_DEP_1)
	v_sub_f32_e32 v58, v51, v52
	v_dual_sub_f32 v56, v52, v56 :: v_dual_sub_f32 v51, v51, v58
	s_delay_alu instid0(VALU_DEP_1) | instskip(NEXT) | instid1(VALU_DEP_1)
	v_dual_sub_f32 v51, v51, v52 :: v_dual_sub_f32 v52, v56, v54
	v_dual_add_f32 v22, v22, v51 :: v_dual_add_f32 v51, v57, v53
	s_delay_alu instid0(VALU_DEP_1) | instskip(NEXT) | instid1(VALU_DEP_2)
	v_add_f32_e32 v22, v52, v22
	v_sub_f32_e32 v52, v51, v57
	s_delay_alu instid0(VALU_DEP_2) | instskip(NEXT) | instid1(VALU_DEP_2)
	v_add_f32_e32 v22, v58, v22
	v_sub_f32_e32 v52, v53, v52
	s_delay_alu instid0(VALU_DEP_2) | instskip(NEXT) | instid1(VALU_DEP_1)
	v_mul_f32_e32 v22, v40, v22
	v_add_f32_e32 v22, v52, v22
	s_delay_alu instid0(VALU_DEP_1) | instskip(NEXT) | instid1(VALU_DEP_1)
	v_add_f32_e32 v40, v51, v22
	v_mul_f32_e32 v52, v40, v40
	s_delay_alu instid0(VALU_DEP_1) | instskip(SKIP_2) | instid1(VALU_DEP_3)
	v_fmaak_f32 v53, s0, v52, 0x3ecc95a3
	v_mul_f32_e32 v54, v40, v52
	v_cmp_eq_f32_e64 s0, 0x7f800000, v35
	v_fmaak_f32 v52, v52, v53, 0x3f2aaada
	v_ldexp_f32 v53, v40, 1
	v_sub_f32_e32 v40, v40, v51
	s_delay_alu instid0(VALU_DEP_4) | instskip(NEXT) | instid1(VALU_DEP_3)
	s_or_b32 s0, s1, s0
	v_mul_f32_e32 v52, v54, v52
	v_mul_f32_e32 v54, 0x3f317218, v21
	s_delay_alu instid0(VALU_DEP_3) | instskip(NEXT) | instid1(VALU_DEP_3)
	v_sub_f32_e32 v22, v22, v40
	v_add_f32_e32 v51, v53, v52
	s_delay_alu instid0(VALU_DEP_2) | instskip(NEXT) | instid1(VALU_DEP_2)
	v_ldexp_f32 v22, v22, 1
	v_sub_f32_e32 v40, v51, v53
	v_fma_f32 v53, 0x3f317218, v21, -v54
	s_delay_alu instid0(VALU_DEP_1) | instskip(NEXT) | instid1(VALU_DEP_1)
	v_dual_sub_f32 v40, v52, v40 :: v_dual_fmamk_f32 v21, v21, 0xb102e308, v53
	v_add_f32_e32 v22, v22, v40
	s_delay_alu instid0(VALU_DEP_2) | instskip(NEXT) | instid1(VALU_DEP_2)
	v_add_f32_e32 v40, v54, v21
	v_add_f32_e32 v52, v51, v22
	s_delay_alu instid0(VALU_DEP_2) | instskip(NEXT) | instid1(VALU_DEP_2)
	v_sub_f32_e32 v54, v40, v54
	v_add_f32_e32 v53, v40, v52
	v_sub_f32_e32 v51, v52, v51
	s_delay_alu instid0(VALU_DEP_3) | instskip(NEXT) | instid1(VALU_DEP_3)
	v_sub_f32_e32 v21, v21, v54
	v_sub_f32_e32 v56, v53, v40
	s_delay_alu instid0(VALU_DEP_1) | instskip(NEXT) | instid1(VALU_DEP_1)
	v_dual_sub_f32 v22, v22, v51 :: v_dual_sub_f32 v57, v53, v56
	v_dual_sub_f32 v51, v52, v56 :: v_dual_add_f32 v52, v21, v22
	s_delay_alu instid0(VALU_DEP_2) | instskip(NEXT) | instid1(VALU_DEP_1)
	v_sub_f32_e32 v40, v40, v57
	v_dual_add_f32 v40, v51, v40 :: v_dual_sub_f32 v51, v52, v21
	s_delay_alu instid0(VALU_DEP_1) | instskip(NEXT) | instid1(VALU_DEP_2)
	v_add_f32_e32 v40, v52, v40
	v_sub_f32_e32 v52, v52, v51
	v_sub_f32_e32 v22, v22, v51
	s_delay_alu instid0(VALU_DEP_3) | instskip(NEXT) | instid1(VALU_DEP_3)
	v_add_f32_e32 v54, v53, v40
	v_sub_f32_e32 v21, v21, v52
	s_delay_alu instid0(VALU_DEP_2) | instskip(NEXT) | instid1(VALU_DEP_1)
	v_sub_f32_e32 v51, v54, v53
	v_dual_add_f32 v21, v22, v21 :: v_dual_sub_f32 v22, v40, v51
	s_delay_alu instid0(VALU_DEP_1) | instskip(NEXT) | instid1(VALU_DEP_1)
	v_add_f32_e32 v21, v21, v22
	v_add_f32_e32 v21, v54, v21
	s_delay_alu instid0(VALU_DEP_1)
	v_cndmask_b32_e64 v35, v21, v35, s0
.LBB9_24:
	s_or_b32 exec_lo, exec_lo, s3
	v_add_co_u32 v21, s0, v19, s16
	s_delay_alu instid0(VALU_DEP_1) | instskip(NEXT) | instid1(VALU_DEP_3)
	v_add_co_ci_u32_e64 v22, s0, s17, v20, s0
	v_dual_mov_b32 v40, 0 :: v_dual_mul_f32 v87, v35, v16
	v_mul_f32_e32 v91, v35, v12
	global_load_b32 v19, v[21:22], off
	ds_load_b128 v[51:54], v40
	ds_load_b128 v[56:59], v40 offset:16
	ds_load_b128 v[62:65], v40 offset:32
	;; [unrolled: 1-line block ×3, first 2 shown]
	v_dual_mul_f32 v102, 0x3fb8aa3b, v87 :: v_dual_mul_f32 v95, v35, v8
	v_dual_mul_f32 v106, 0x3fb8aa3b, v91 :: v_dual_mul_f32 v99, v35, v4
	ds_load_b128 v[70:73], v40 offset:64
	ds_load_b128 v[74:77], v40 offset:80
	;; [unrolled: 1-line block ×4, first 2 shown]
	v_mul_f32_e32 v110, 0x3fb8aa3b, v95
	v_dual_mul_f32 v96, v35, v1 :: v_dual_mul_f32 v113, 0x3fb8aa3b, v99
	v_mul_f32_e32 v94, v35, v7
	v_fma_f32 v120, 0x3fb8aa3b, v87, -v102
	v_rndne_f32_e32 v121, v102
	s_delay_alu instid0(VALU_DEP_4) | instskip(NEXT) | instid1(VALU_DEP_4)
	v_dual_mul_f32 v111, 0x3fb8aa3b, v96 :: v_dual_mul_f32 v92, v35, v5
	v_dual_mul_f32 v109, 0x3fb8aa3b, v94 :: v_dual_mul_f32 v90, v35, v11
	v_rndne_f32_e32 v145, v113
	s_delay_alu instid0(VALU_DEP_3) | instskip(NEXT) | instid1(VALU_DEP_3)
	v_dual_mul_f32 v98, v35, v3 :: v_dual_mul_f32 v107, 0x3fb8aa3b, v92
	v_dual_mul_f32 v88, v35, v9 :: v_dual_mul_f32 v105, 0x3fb8aa3b, v90
	v_mul_f32_e32 v86, v35, v15
	v_rndne_f32_e32 v135, v109
	s_delay_alu instid0(VALU_DEP_4) | instskip(NEXT) | instid1(VALU_DEP_4)
	v_rndne_f32_e32 v131, v107
	v_dual_mul_f32 v103, 0x3fb8aa3b, v88 :: v_dual_mul_f32 v20, v35, v13
	s_delay_alu instid0(VALU_DEP_4) | instskip(SKIP_2) | instid1(VALU_DEP_4)
	v_mul_f32_e32 v101, 0x3fb8aa3b, v86
	v_mul_f32_e32 v60, v35, v14
	v_rndne_f32_e32 v127, v105
	v_rndne_f32_e32 v123, v103
	v_mul_f32_e32 v61, 0x3fb8aa3b, v20
	s_delay_alu instid0(VALU_DEP_4) | instskip(SKIP_2) | instid1(VALU_DEP_4)
	v_dual_mul_f32 v89, v35, v10 :: v_dual_mul_f32 v100, 0x3fb8aa3b, v60
	v_mul_f32_e32 v93, v35, v6
	v_fma_f32 v118, 0x3fb8aa3b, v86, -v101
	v_fma_f32 v114, 0x3fb8aa3b, v20, -v61
	s_delay_alu instid0(VALU_DEP_4) | instskip(NEXT) | instid1(VALU_DEP_4)
	v_dual_mul_f32 v104, 0x3fb8aa3b, v89 :: v_dual_mul_f32 v97, v35, v2
	v_mul_f32_e32 v108, 0x3fb8aa3b, v93
	v_rndne_f32_e32 v115, v61
	v_fma_f32 v116, 0x3fb8aa3b, v60, -v100
	v_rndne_f32_e32 v117, v100
	v_mul_f32_e32 v40, 0x3fb8aa3b, v97
	s_delay_alu instid0(VALU_DEP_4)
	v_dual_fmac_f32 v114, 0x32a5705f, v20 :: v_dual_sub_f32 v61, v61, v115
	v_rndne_f32_e32 v119, v101
	v_fma_f32 v122, 0x3fb8aa3b, v88, -v103
	v_sub_f32_e32 v103, v103, v123
	v_fma_f32 v132, 0x3fb8aa3b, v93, -v108
	v_fmac_f32_e32 v116, 0x32a5705f, v60
	v_sub_f32_e32 v100, v100, v117
	v_dual_fmac_f32 v120, 0x32a5705f, v87 :: v_dual_add_f32 v61, v61, v114
	v_fma_f32 v126, 0x3fb8aa3b, v90, -v105
	v_fma_f32 v130, 0x3fb8aa3b, v92, -v107
	;; [unrolled: 1-line block ×3, first 2 shown]
	v_dual_fmac_f32 v118, 0x32a5705f, v86 :: v_dual_sub_f32 v101, v101, v119
	v_sub_f32_e32 v105, v105, v127
	v_dual_sub_f32 v107, v107, v131 :: v_dual_fmac_f32 v132, 0x32a5705f, v93
	v_dual_sub_f32 v113, v113, v145 :: v_dual_mul_f32 v112, 0x3fb8aa3b, v98
	v_exp_f32_e32 v61, v61
	v_rndne_f32_e32 v133, v108
	v_fma_f32 v134, 0x3fb8aa3b, v94, -v109
	v_rndne_f32_e32 v139, v111
	v_rndne_f32_e32 v143, v112
	v_cvt_i32_f32_e32 v115, v115
	v_dual_sub_f32 v102, v102, v121 :: v_dual_sub_f32 v109, v109, v135
	v_dual_fmac_f32 v122, 0x32a5705f, v88 :: v_dual_add_f32 v101, v101, v118
	v_fma_f32 v124, 0x3fb8aa3b, v89, -v104
	v_rndne_f32_e32 v125, v104
	v_fma_f32 v138, 0x3fb8aa3b, v96, -v111
	v_fma_f32 v142, 0x3fb8aa3b, v98, -v112
	v_cvt_i32_f32_e32 v117, v117
	v_sub_f32_e32 v111, v111, v139
	v_exp_f32_e32 v101, v101
	v_ldexp_f32 v61, v61, v115
	v_cmp_ngt_f32_e64 s0, 0xc2ce8ed0, v20
	v_cvt_i32_f32_e32 v119, v119
	v_dual_fmac_f32 v124, 0x32a5705f, v89 :: v_dual_add_f32 v103, v103, v122
	v_fma_f32 v128, 0x3fb8aa3b, v91, -v106
	s_delay_alu instid0(VALU_DEP_4)
	v_cndmask_b32_e64 v61, 0, v61, s0
	v_cmp_ngt_f32_e64 s0, 0xc2ce8ed0, v60
	v_rndne_f32_e32 v129, v106
	v_cvt_i32_f32_e32 v121, v121
	v_exp_f32_e32 v103, v103
	v_ldexp_f32 v101, v101, v119
	v_cvt_i32_f32_e32 v123, v123
	v_cvt_i32_f32_e32 v127, v127
	v_fma_f32 v136, 0x3fb8aa3b, v95, -v110
	v_rndne_f32_e32 v137, v110
	v_cvt_i32_f32_e32 v131, v131
	v_fma_f32 v140, 0x3fb8aa3b, v97, -v40
	v_rndne_f32_e32 v141, v40
	v_cvt_i32_f32_e32 v135, v135
	v_ldexp_f32 v103, v103, v123
	v_sub_f32_e32 v110, v110, v137
	v_cvt_i32_f32_e32 v137, v137
	v_sub_f32_e32 v40, v40, v141
	v_fmac_f32_e32 v142, 0x32a5705f, v98
	v_cvt_i32_f32_e32 v139, v139
	v_cvt_i32_f32_e32 v141, v141
	;; [unrolled: 1-line block ×3, first 2 shown]
	s_waitcnt vmcnt(0)
	v_dual_mul_f32 v19, v35, v19 :: v_dual_add_f32 v100, v100, v116
	v_sub_f32_e32 v108, v108, v133
	v_sub_f32_e32 v112, v112, v143
	s_waitcnt lgkmcnt(7)
	s_delay_alu instid0(VALU_DEP_3)
	v_dual_add_f32 v102, v102, v120 :: v_dual_mul_f32 v35, v19, v51
	v_exp_f32_e32 v100, v100
	s_waitcnt lgkmcnt(6)
	v_dual_mul_f32 v51, v19, v58 :: v_dual_fmac_f32 v144, 0x32a5705f, v99
	v_fmac_f32_e32 v126, 0x32a5705f, v90
	v_exp_f32_e32 v102, v102
	v_fmac_f32_e32 v138, 0x32a5705f, v96
	v_fmac_f32_e32 v130, 0x32a5705f, v92
	v_dual_add_f32 v113, v113, v144 :: v_dual_sub_f32 v104, v104, v125
	v_add_f32_e32 v105, v105, v126
	s_delay_alu instid0(TRANS32_DEP_2) | instskip(SKIP_3) | instid1(VALU_DEP_4)
	v_ldexp_f32 v100, v100, v117
	v_fmac_f32_e32 v134, 0x32a5705f, v94
	v_sub_f32_e32 v106, v106, v129
	v_dual_add_f32 v104, v104, v124 :: v_dual_add_f32 v111, v111, v138
	v_cndmask_b32_e64 v100, 0, v100, s0
	v_cmp_ngt_f32_e64 s0, 0xc2ce8ed0, v86
	v_dual_fmac_f32 v128, 0x32a5705f, v91 :: v_dual_add_f32 v107, v107, v130
	s_delay_alu instid0(VALU_DEP_4) | instskip(SKIP_1) | instid1(VALU_DEP_3)
	v_exp_f32_e32 v104, v104
	v_ldexp_f32 v102, v102, v121
	v_cndmask_b32_e64 v101, 0, v101, s0
	v_cmp_ngt_f32_e64 s0, 0xc2ce8ed0, v87
	v_cvt_i32_f32_e32 v125, v125
	v_dual_add_f32 v109, v109, v134 :: v_dual_add_f32 v106, v106, v128
	v_exp_f32_e32 v105, v105
	s_delay_alu instid0(VALU_DEP_3) | instskip(SKIP_1) | instid1(TRANS32_DEP_2)
	v_cndmask_b32_e64 v102, 0, v102, s0
	v_cmp_ngt_f32_e64 s0, 0xc2ce8ed0, v88
	v_ldexp_f32 v104, v104, v125
	v_exp_f32_e32 v106, v106
	v_cvt_i32_f32_e32 v129, v129
	v_add_f32_e32 v108, v108, v132
	v_cndmask_b32_e64 v103, 0, v103, s0
	v_cmp_ngt_f32_e64 s0, 0xc2ce8ed0, v89
	v_exp_f32_e32 v107, v107
	v_ldexp_f32 v105, v105, v127
	v_fmac_f32_e32 v136, 0x32a5705f, v95
	v_exp_f32_e32 v108, v108
	v_cndmask_b32_e64 v104, 0, v104, s0
	v_cmp_ngt_f32_e64 s0, 0xc2ce8ed0, v90
	v_ldexp_f32 v106, v106, v129
	v_cvt_i32_f32_e32 v133, v133
	v_add_f32_e32 v110, v110, v136
	v_exp_f32_e32 v109, v109
	v_cndmask_b32_e64 v105, 0, v105, s0
	v_cmp_ngt_f32_e64 s0, 0xc2ce8ed0, v91
	v_ldexp_f32 v107, v107, v131
	v_fmac_f32_e32 v140, 0x32a5705f, v97
	v_exp_f32_e32 v110, v110
	v_ldexp_f32 v108, v108, v133
	v_cndmask_b32_e64 v106, 0, v106, s0
	v_cmp_ngt_f32_e64 s0, 0xc2ce8ed0, v92
	v_add_f32_e32 v40, v40, v140
	v_exp_f32_e32 v111, v111
	v_ldexp_f32 v109, v109, v135
	v_add_f32_e32 v112, v112, v142
	v_cndmask_b32_e64 v107, 0, v107, s0
	v_cmp_ngt_f32_e64 s0, 0xc2ce8ed0, v93
	v_exp_f32_e32 v40, v40
	v_ldexp_f32 v110, v110, v137
	v_exp_f32_e32 v112, v112
	v_cvt_i32_f32_e32 v143, v143
	v_cndmask_b32_e64 v108, 0, v108, s0
	v_cmp_ngt_f32_e64 s0, 0xc2ce8ed0, v94
	v_ldexp_f32 v111, v111, v139
	v_exp_f32_e32 v113, v113
	s_waitcnt lgkmcnt(4)
	v_mul_f32_e32 v58, v19, v66
	v_cndmask_b32_e64 v109, 0, v109, s0
	v_cmp_ngt_f32_e64 s0, 0xc2ce8ed0, v95
	v_ldexp_f32 v40, v40, v141
	v_ldexp_f32 v112, v112, v143
	s_delay_alu instid0(VALU_DEP_3) | instskip(SKIP_1) | instid1(TRANS32_DEP_1)
	v_cndmask_b32_e64 v110, 0, v110, s0
	v_cmp_ngt_f32_e64 s0, 0xc2ce8ed0, v96
	v_ldexp_f32 v113, v113, v145
	s_delay_alu instid0(VALU_DEP_2) | instskip(SKIP_1) | instid1(VALU_DEP_1)
	v_cndmask_b32_e64 v111, 0, v111, s0
	v_cmp_ngt_f32_e64 s0, 0xc2ce8ed0, v97
	v_cndmask_b32_e64 v114, 0, v40, s0
	v_cmp_ngt_f32_e64 s0, 0xc2ce8ed0, v98
	s_delay_alu instid0(VALU_DEP_1) | instskip(SKIP_1) | instid1(VALU_DEP_1)
	v_cndmask_b32_e64 v112, 0, v112, s0
	v_cmp_nlt_f32_e64 s0, 0x42b17218, v20
	v_cndmask_b32_e64 v20, 0x7f800000, v61, s0
	v_cmp_ngt_f32_e64 s0, 0xc2ce8ed0, v99
	v_mul_f32_e32 v61, v19, v52
	v_mul_f32_e32 v52, v19, v59
	;; [unrolled: 1-line block ×3, first 2 shown]
	v_fmac_f32_e32 v35, v37, v20
	v_cndmask_b32_e64 v113, 0, v113, s0
	v_cmp_nlt_f32_e64 s0, 0x42b17218, v60
	v_mul_f32_e32 v37, v19, v53
	v_mul_f32_e32 v53, v19, v62
	s_waitcnt lgkmcnt(3)
	v_fma_f32 v70, v70, v35, 0
	v_mul_f32_e32 v60, v19, v68
	v_cndmask_b32_e64 v40, 0x7f800000, v100, s0
	v_cmp_nlt_f32_e64 s0, 0x42b17218, v86
	v_mul_f32_e32 v62, v19, v69
	s_delay_alu instid0(VALU_DEP_3) | instskip(NEXT) | instid1(VALU_DEP_3)
	v_fmac_f32_e32 v61, v39, v40
	v_cndmask_b32_e64 v20, 0x7f800000, v101, s0
	v_cmp_nlt_f32_e64 s0, 0x42b17218, v87
	v_mul_f32_e32 v39, v19, v54
	v_mul_f32_e32 v54, v19, v63
	s_delay_alu instid0(VALU_DEP_4) | instskip(NEXT) | instid1(VALU_DEP_4)
	v_dual_fmac_f32 v70, v71, v61 :: v_dual_fmac_f32 v37, v38, v20
	v_cndmask_b32_e64 v40, 0x7f800000, v102, s0
	v_cmp_nlt_f32_e64 s0, 0x42b17218, v88
	v_mul_f32_e32 v38, v19, v56
	v_mul_f32_e32 v56, v19, v64
	v_fmac_f32_e32 v70, v72, v37
	v_fmac_f32_e32 v39, v36, v40
	v_cndmask_b32_e64 v20, 0x7f800000, v103, s0
	v_cmp_nlt_f32_e64 s0, 0x42b17218, v89
	v_mul_f32_e32 v40, v19, v57
	s_delay_alu instid0(VALU_DEP_4) | instskip(NEXT) | instid1(VALU_DEP_4)
	v_dual_mul_f32 v57, v19, v65 :: v_dual_fmac_f32 v70, v73, v39
	v_fmac_f32_e32 v38, v23, v20
	s_delay_alu instid0(VALU_DEP_4) | instskip(SKIP_2) | instid1(VALU_DEP_3)
	v_cndmask_b32_e64 v36, 0x7f800000, v104, s0
	v_cmp_nlt_f32_e64 s0, 0x42b17218, v90
	s_waitcnt lgkmcnt(2)
	v_fmac_f32_e32 v70, v74, v38
	s_delay_alu instid0(VALU_DEP_3) | instskip(NEXT) | instid1(VALU_DEP_3)
	v_fmac_f32_e32 v40, v24, v36
	v_cndmask_b32_e64 v20, 0x7f800000, v105, s0
	v_cmp_nlt_f32_e64 s0, 0x42b17218, v91
	s_delay_alu instid0(VALU_DEP_3) | instskip(NEXT) | instid1(VALU_DEP_3)
	v_fmac_f32_e32 v70, v75, v40
	v_fmac_f32_e32 v51, v25, v20
	s_delay_alu instid0(VALU_DEP_3) | instskip(SKIP_1) | instid1(VALU_DEP_3)
	v_cndmask_b32_e64 v23, 0x7f800000, v106, s0
	v_cmp_nlt_f32_e64 s0, 0x42b17218, v92
	v_fmac_f32_e32 v70, v76, v51
	s_delay_alu instid0(VALU_DEP_3) | instskip(NEXT) | instid1(VALU_DEP_3)
	v_fmac_f32_e32 v52, v26, v23
	v_cndmask_b32_e64 v20, 0x7f800000, v107, s0
	v_cmp_nlt_f32_e64 s0, 0x42b17218, v93
	s_delay_alu instid0(VALU_DEP_3) | instskip(NEXT) | instid1(VALU_DEP_3)
	v_fmac_f32_e32 v70, v77, v52
	v_fmac_f32_e32 v53, v27, v20
	s_delay_alu instid0(VALU_DEP_3) | instskip(SKIP_2) | instid1(VALU_DEP_3)
	v_cndmask_b32_e64 v23, 0x7f800000, v108, s0
	v_cmp_nlt_f32_e64 s0, 0x42b17218, v94
	s_waitcnt lgkmcnt(1)
	v_fmac_f32_e32 v70, v78, v53
	s_delay_alu instid0(VALU_DEP_3) | instskip(NEXT) | instid1(VALU_DEP_3)
	v_fmac_f32_e32 v54, v28, v23
	v_cndmask_b32_e64 v20, 0x7f800000, v109, s0
	v_cmp_nlt_f32_e64 s0, 0x42b17218, v95
	s_delay_alu instid0(VALU_DEP_3) | instskip(NEXT) | instid1(VALU_DEP_3)
	v_fmac_f32_e32 v70, v79, v54
	v_fmac_f32_e32 v56, v29, v20
	s_delay_alu instid0(VALU_DEP_3) | instskip(SKIP_1) | instid1(VALU_DEP_2)
	v_cndmask_b32_e64 v23, 0x7f800000, v110, s0
	v_cmp_nlt_f32_e64 s0, 0x42b17218, v96
	v_dual_fmac_f32 v70, v80, v56 :: v_dual_fmac_f32 v57, v30, v23
	s_delay_alu instid0(VALU_DEP_2) | instskip(SKIP_1) | instid1(VALU_DEP_3)
	v_cndmask_b32_e64 v20, 0x7f800000, v111, s0
	v_cmp_nlt_f32_e64 s0, 0x42b17218, v97
	v_fmac_f32_e32 v70, v81, v57
	s_delay_alu instid0(VALU_DEP_3) | instskip(NEXT) | instid1(VALU_DEP_3)
	v_fmac_f32_e32 v58, v31, v20
	v_cndmask_b32_e64 v23, 0x7f800000, v114, s0
	v_cmp_nlt_f32_e64 s0, 0x42b17218, v98
	s_waitcnt lgkmcnt(0)
	s_delay_alu instid0(VALU_DEP_2) | instskip(NEXT) | instid1(VALU_DEP_2)
	v_dual_fmac_f32 v70, v82, v58 :: v_dual_fmac_f32 v59, v32, v23
	v_cndmask_b32_e64 v20, 0x7f800000, v112, s0
	v_cmp_nlt_f32_e64 s0, 0x42b17218, v99
	s_delay_alu instid0(VALU_DEP_3) | instskip(NEXT) | instid1(VALU_DEP_3)
	v_fmac_f32_e32 v70, v83, v59
	v_fmac_f32_e32 v60, v33, v20
	s_delay_alu instid0(VALU_DEP_3) | instskip(SKIP_1) | instid1(VALU_DEP_3)
	v_cndmask_b32_e64 v23, 0x7f800000, v113, s0
	v_mad_i64_i32 v[19:20], null, s12, 20, v[47:48]
	v_fmac_f32_e32 v70, v84, v60
	s_delay_alu instid0(VALU_DEP_3) | instskip(NEXT) | instid1(VALU_DEP_1)
	v_fmac_f32_e32 v62, v34, v23
	v_fmac_f32_e32 v70, v85, v62
	global_store_b32 v[19:20], v70, off
	s_waitcnt_vscnt null, 0x0
	s_barrier
	buffer_gl0_inv
	s_and_saveexec_b32 s0, vcc_lo
	s_cbranch_execz .LBB9_26
; %bb.25:
	v_mad_i64_i32 v[23:24], null, s2, 24, v[43:44]
	v_mad_i64_i32 v[25:26], null, s10, 24, v[45:46]
	global_load_b32 v23, v[23:24], off
	global_load_b32 v24, v[25:26], off
	s_waitcnt vmcnt(1)
	ds_store_b32 v55, v23
	s_waitcnt vmcnt(0)
	ds_store_b32 v0, v24
.LBB9_26:
	s_or_b32 exec_lo, exec_lo, s0
	v_add_co_u32 v17, s0, v17, s8
	s_delay_alu instid0(VALU_DEP_1)
	v_add_co_ci_u32_e64 v18, s0, s9, v18, s0
	s_waitcnt lgkmcnt(0)
	s_barrier
	buffer_gl0_inv
	global_load_b32 v23, v[17:18], off
	s_mov_b32 s3, exec_lo
	s_waitcnt vmcnt(0)
	v_cmpx_ge_f32_e32 0x41a00000, v23
	s_cbranch_execz .LBB9_28
; %bb.27:
	v_mul_f32_e32 v24, 0x3fb8aa3b, v23
	v_cmp_ngt_f32_e64 s0, 0xc2ce8ed0, v23
	s_delay_alu instid0(VALU_DEP_2) | instskip(SKIP_1) | instid1(VALU_DEP_2)
	v_rndne_f32_e32 v25, v24
	v_fma_f32 v26, 0x3fb8aa3b, v23, -v24
	v_sub_f32_e32 v24, v24, v25
	s_delay_alu instid0(VALU_DEP_2) | instskip(SKIP_1) | instid1(VALU_DEP_2)
	v_fmamk_f32 v26, v23, 0x32a5705f, v26
	v_cvt_i32_f32_e32 v25, v25
	v_add_f32_e32 v24, v24, v26
	s_delay_alu instid0(VALU_DEP_1) | instskip(SKIP_2) | instid1(VALU_DEP_1)
	v_exp_f32_e32 v24, v24
	s_waitcnt_depctr 0xfff
	v_ldexp_f32 v24, v24, v25
	v_cndmask_b32_e64 v24, 0, v24, s0
	v_cmp_nlt_f32_e64 s0, 0x42b17218, v23
	s_delay_alu instid0(VALU_DEP_1) | instskip(NEXT) | instid1(VALU_DEP_1)
	v_cndmask_b32_e64 v25, 0x7f800000, v24, s0
	v_add_f32_e32 v26, 1.0, v25
	v_cmp_gt_f32_e64 s1, 0x33800000, v25
	s_delay_alu instid0(VALU_DEP_2) | instskip(NEXT) | instid1(VALU_DEP_1)
	v_cvt_f64_f32_e32 v[23:24], v26
	v_frexp_exp_i32_f64_e32 v23, v[23:24]
	v_frexp_mant_f32_e32 v24, v26
	s_delay_alu instid0(VALU_DEP_1) | instskip(SKIP_1) | instid1(VALU_DEP_1)
	v_cmp_gt_f32_e64 s0, 0x3f2aaaab, v24
	v_add_f32_e32 v24, -1.0, v26
	v_sub_f32_e32 v28, v24, v26
	v_sub_f32_e32 v24, v25, v24
	s_delay_alu instid0(VALU_DEP_2) | instskip(NEXT) | instid1(VALU_DEP_1)
	v_add_f32_e32 v28, 1.0, v28
	v_add_f32_e32 v24, v24, v28
	v_subrev_co_ci_u32_e64 v23, s0, 0, v23, s0
	s_mov_b32 s0, 0x3e9b6dac
	s_delay_alu instid0(VALU_DEP_1) | instskip(SKIP_1) | instid1(VALU_DEP_2)
	v_sub_nc_u32_e32 v27, 0, v23
	v_cvt_f32_i32_e32 v23, v23
	v_ldexp_f32 v26, v26, v27
	v_ldexp_f32 v24, v24, v27
	s_delay_alu instid0(VALU_DEP_2) | instskip(NEXT) | instid1(VALU_DEP_1)
	v_add_f32_e32 v29, 1.0, v26
	v_dual_add_f32 v27, -1.0, v26 :: v_dual_add_f32 v28, -1.0, v29
	s_delay_alu instid0(VALU_DEP_1) | instskip(NEXT) | instid1(VALU_DEP_2)
	v_add_f32_e32 v30, 1.0, v27
	v_sub_f32_e32 v28, v26, v28
	s_delay_alu instid0(VALU_DEP_2) | instskip(NEXT) | instid1(VALU_DEP_2)
	v_sub_f32_e32 v26, v26, v30
	v_add_f32_e32 v28, v24, v28
	s_delay_alu instid0(VALU_DEP_1) | instskip(NEXT) | instid1(VALU_DEP_3)
	v_add_f32_e32 v30, v29, v28
	v_add_f32_e32 v24, v24, v26
	s_delay_alu instid0(VALU_DEP_2) | instskip(NEXT) | instid1(VALU_DEP_1)
	v_rcp_f32_e32 v26, v30
	v_add_f32_e32 v31, v27, v24
	v_sub_f32_e32 v29, v29, v30
	s_delay_alu instid0(VALU_DEP_1) | instskip(SKIP_2) | instid1(VALU_DEP_1)
	v_dual_sub_f32 v27, v27, v31 :: v_dual_add_f32 v28, v28, v29
	s_waitcnt_depctr 0xfff
	v_mul_f32_e32 v32, v31, v26
	v_dual_add_f32 v24, v24, v27 :: v_dual_mul_f32 v33, v30, v32
	s_delay_alu instid0(VALU_DEP_1) | instskip(NEXT) | instid1(VALU_DEP_1)
	v_fma_f32 v29, v32, v30, -v33
	v_fmac_f32_e32 v29, v32, v28
	s_delay_alu instid0(VALU_DEP_1) | instskip(NEXT) | instid1(VALU_DEP_1)
	v_add_f32_e32 v34, v33, v29
	v_dual_sub_f32 v36, v31, v34 :: v_dual_sub_f32 v27, v34, v33
	s_delay_alu instid0(VALU_DEP_1) | instskip(NEXT) | instid1(VALU_DEP_2)
	v_sub_f32_e32 v31, v31, v36
	v_sub_f32_e32 v27, v27, v29
	s_delay_alu instid0(VALU_DEP_2) | instskip(NEXT) | instid1(VALU_DEP_1)
	v_sub_f32_e32 v31, v31, v34
	v_add_f32_e32 v24, v24, v31
	s_delay_alu instid0(VALU_DEP_1) | instskip(NEXT) | instid1(VALU_DEP_1)
	v_add_f32_e32 v24, v27, v24
	v_add_f32_e32 v27, v36, v24
	s_delay_alu instid0(VALU_DEP_1) | instskip(NEXT) | instid1(VALU_DEP_1)
	v_mul_f32_e32 v29, v26, v27
	v_dual_sub_f32 v34, v36, v27 :: v_dual_mul_f32 v31, v30, v29
	s_delay_alu instid0(VALU_DEP_1) | instskip(NEXT) | instid1(VALU_DEP_2)
	v_add_f32_e32 v24, v24, v34
	v_fma_f32 v30, v29, v30, -v31
	s_delay_alu instid0(VALU_DEP_1) | instskip(NEXT) | instid1(VALU_DEP_1)
	v_fmac_f32_e32 v30, v29, v28
	v_add_f32_e32 v28, v31, v30
	s_delay_alu instid0(VALU_DEP_1) | instskip(SKIP_1) | instid1(VALU_DEP_2)
	v_sub_f32_e32 v33, v27, v28
	v_sub_f32_e32 v31, v28, v31
	;; [unrolled: 1-line block ×3, first 2 shown]
	s_delay_alu instid0(VALU_DEP_1) | instskip(NEXT) | instid1(VALU_DEP_3)
	v_sub_f32_e32 v27, v27, v28
	v_sub_f32_e32 v28, v31, v30
	s_delay_alu instid0(VALU_DEP_2) | instskip(SKIP_1) | instid1(VALU_DEP_2)
	v_add_f32_e32 v24, v24, v27
	v_add_f32_e32 v27, v32, v29
	;; [unrolled: 1-line block ×3, first 2 shown]
	s_delay_alu instid0(VALU_DEP_2) | instskip(NEXT) | instid1(VALU_DEP_2)
	v_sub_f32_e32 v28, v27, v32
	v_add_f32_e32 v24, v33, v24
	s_delay_alu instid0(VALU_DEP_2) | instskip(NEXT) | instid1(VALU_DEP_2)
	v_sub_f32_e32 v28, v29, v28
	v_mul_f32_e32 v24, v26, v24
	s_delay_alu instid0(VALU_DEP_1) | instskip(NEXT) | instid1(VALU_DEP_1)
	v_add_f32_e32 v24, v28, v24
	v_add_f32_e32 v26, v27, v24
	s_delay_alu instid0(VALU_DEP_1) | instskip(NEXT) | instid1(VALU_DEP_1)
	v_mul_f32_e32 v28, v26, v26
	v_fmaak_f32 v29, s0, v28, 0x3ecc95a3
	v_mul_f32_e32 v30, v26, v28
	v_cmp_eq_f32_e64 s0, 0x7f800000, v25
	s_delay_alu instid0(VALU_DEP_3) | instskip(SKIP_2) | instid1(VALU_DEP_4)
	v_fmaak_f32 v28, v28, v29, 0x3f2aaada
	v_ldexp_f32 v29, v26, 1
	v_sub_f32_e32 v26, v26, v27
	s_or_b32 s0, s1, s0
	s_delay_alu instid0(VALU_DEP_3) | instskip(SKIP_1) | instid1(VALU_DEP_2)
	v_mul_f32_e32 v28, v30, v28
	v_mul_f32_e32 v30, 0x3f317218, v23
	v_dual_sub_f32 v24, v24, v26 :: v_dual_add_f32 v27, v29, v28
	s_delay_alu instid0(VALU_DEP_1) | instskip(NEXT) | instid1(VALU_DEP_2)
	v_ldexp_f32 v24, v24, 1
	v_sub_f32_e32 v26, v27, v29
	s_delay_alu instid0(VALU_DEP_4) | instskip(NEXT) | instid1(VALU_DEP_1)
	v_fma_f32 v29, 0x3f317218, v23, -v30
	v_dual_sub_f32 v26, v28, v26 :: v_dual_fmamk_f32 v23, v23, 0xb102e308, v29
	s_delay_alu instid0(VALU_DEP_1) | instskip(NEXT) | instid1(VALU_DEP_2)
	v_add_f32_e32 v24, v24, v26
	v_add_f32_e32 v26, v30, v23
	s_delay_alu instid0(VALU_DEP_2) | instskip(NEXT) | instid1(VALU_DEP_2)
	v_add_f32_e32 v28, v27, v24
	v_sub_f32_e32 v30, v26, v30
	s_delay_alu instid0(VALU_DEP_2) | instskip(SKIP_1) | instid1(VALU_DEP_3)
	v_add_f32_e32 v29, v26, v28
	v_sub_f32_e32 v27, v28, v27
	v_sub_f32_e32 v23, v23, v30
	s_delay_alu instid0(VALU_DEP_2) | instskip(NEXT) | instid1(VALU_DEP_1)
	v_dual_sub_f32 v31, v29, v26 :: v_dual_sub_f32 v24, v24, v27
	v_sub_f32_e32 v32, v29, v31
	s_delay_alu instid0(VALU_DEP_2) | instskip(NEXT) | instid1(VALU_DEP_2)
	v_dual_sub_f32 v27, v28, v31 :: v_dual_add_f32 v28, v23, v24
	v_sub_f32_e32 v26, v26, v32
	s_delay_alu instid0(VALU_DEP_1) | instskip(NEXT) | instid1(VALU_DEP_1)
	v_dual_add_f32 v26, v27, v26 :: v_dual_sub_f32 v27, v28, v23
	v_add_f32_e32 v26, v28, v26
	s_delay_alu instid0(VALU_DEP_2) | instskip(SKIP_1) | instid1(VALU_DEP_2)
	v_sub_f32_e32 v28, v28, v27
	v_sub_f32_e32 v24, v24, v27
	v_dual_add_f32 v30, v29, v26 :: v_dual_sub_f32 v23, v23, v28
	s_delay_alu instid0(VALU_DEP_1) | instskip(NEXT) | instid1(VALU_DEP_2)
	v_sub_f32_e32 v27, v30, v29
	v_add_f32_e32 v23, v24, v23
	s_delay_alu instid0(VALU_DEP_2) | instskip(NEXT) | instid1(VALU_DEP_1)
	v_sub_f32_e32 v24, v26, v27
	v_add_f32_e32 v23, v23, v24
	s_delay_alu instid0(VALU_DEP_1) | instskip(NEXT) | instid1(VALU_DEP_1)
	v_add_f32_e32 v23, v30, v23
	v_cndmask_b32_e64 v23, v23, v25, s0
.LBB9_28:
	s_or_b32 exec_lo, exec_lo, s3
	v_add_co_u32 v21, s0, v21, s16
	s_delay_alu instid0(VALU_DEP_1) | instskip(NEXT) | instid1(VALU_DEP_3)
	v_add_co_ci_u32_e64 v22, s0, s17, v22, s0
	v_mul_f32_e32 v99, v23, v4
	v_mul_f32_e32 v96, v23, v1
	v_dual_mov_b32 v32, 0 :: v_dual_mul_f32 v33, v23, v14
	global_load_b32 v21, v[21:22], off
	v_mul_f32_e32 v113, 0x3fb8aa3b, v99
	v_dual_mul_f32 v94, v23, v7 :: v_dual_mul_f32 v111, 0x3fb8aa3b, v96
	v_mul_f32_e32 v92, v23, v5
	v_dual_mul_f32 v89, v23, v10 :: v_dual_mul_f32 v100, 0x3fb8aa3b, v33
	s_delay_alu instid0(VALU_DEP_3) | instskip(NEXT) | instid1(VALU_DEP_3)
	v_dual_mul_f32 v109, 0x3fb8aa3b, v94 :: v_dual_mul_f32 v90, v23, v11
	v_dual_mul_f32 v107, 0x3fb8aa3b, v92 :: v_dual_mul_f32 v88, v23, v9
	s_delay_alu instid0(VALU_DEP_3) | instskip(NEXT) | instid1(VALU_DEP_3)
	v_dual_mul_f32 v93, v23, v6 :: v_dual_mul_f32 v104, 0x3fb8aa3b, v89
	;; [unrolled: 3-line block ×3, first 2 shown]
	v_dual_mul_f32 v97, v23, v2 :: v_dual_mul_f32 v108, 0x3fb8aa3b, v93
	s_delay_alu instid0(VALU_DEP_3) | instskip(NEXT) | instid1(VALU_DEP_3)
	v_mul_f32_e32 v101, 0x3fb8aa3b, v34
	v_dual_mul_f32 v87, v23, v16 :: v_dual_mul_f32 v36, 0x3fb8aa3b, v22
	v_rndne_f32_e32 v139, v111
	v_mul_f32_e32 v91, v23, v12
	s_delay_alu instid0(VALU_DEP_4) | instskip(NEXT) | instid1(VALU_DEP_4)
	v_fma_f32 v118, 0x3fb8aa3b, v34, -v101
	v_mul_f32_e32 v102, 0x3fb8aa3b, v87
	v_fma_f32 v114, 0x3fb8aa3b, v22, -v36
	v_rndne_f32_e32 v115, v36
	v_rndne_f32_e32 v119, v101
	v_dual_mul_f32 v95, v23, v8 :: v_dual_mul_f32 v106, 0x3fb8aa3b, v91
	ds_load_b128 v[24:27], v32
	ds_load_b128 v[28:31], v32 offset:16
	ds_load_b128 v[63:66], v32 offset:32
	;; [unrolled: 1-line block ×7, first 2 shown]
	v_dual_mul_f32 v32, 0x3fb8aa3b, v97 :: v_dual_sub_f32 v101, v101, v119
	v_fma_f32 v116, 0x3fb8aa3b, v33, -v100
	v_rndne_f32_e32 v117, v100
	v_rndne_f32_e32 v127, v105
	v_fma_f32 v138, 0x3fb8aa3b, v96, -v111
	v_fmac_f32_e32 v114, 0x32a5705f, v22
	v_dual_fmac_f32 v118, 0x32a5705f, v34 :: v_dual_sub_f32 v111, v111, v139
	v_sub_f32_e32 v36, v36, v115
	v_mul_f32_e32 v110, 0x3fb8aa3b, v95
	v_fma_f32 v126, 0x3fb8aa3b, v90, -v105
	s_delay_alu instid0(VALU_DEP_4)
	v_add_f32_e32 v101, v101, v118
	v_fma_f32 v130, 0x3fb8aa3b, v92, -v107
	v_rndne_f32_e32 v131, v107
	v_rndne_f32_e32 v135, v109
	v_fma_f32 v144, 0x3fb8aa3b, v99, -v113
	v_rndne_f32_e32 v145, v113
	s_delay_alu instid0(VALU_DEP_4) | instskip(SKIP_2) | instid1(VALU_DEP_4)
	v_dual_fmac_f32 v116, 0x32a5705f, v33 :: v_dual_sub_f32 v107, v107, v131
	v_dual_sub_f32 v100, v100, v117 :: v_dual_sub_f32 v105, v105, v127
	v_add_f32_e32 v36, v36, v114
	v_dual_mul_f32 v98, v23, v3 :: v_dual_sub_f32 v113, v113, v145
	v_fma_f32 v120, 0x3fb8aa3b, v87, -v102
	v_rndne_f32_e32 v121, v102
	v_fma_f32 v122, 0x3fb8aa3b, v88, -v103
	v_rndne_f32_e32 v123, v103
	v_fma_f32 v134, 0x3fb8aa3b, v94, -v109
	v_dual_fmac_f32 v130, 0x32a5705f, v92 :: v_dual_sub_f32 v109, v109, v135
	v_fmac_f32_e32 v144, 0x32a5705f, v99
	v_add_f32_e32 v100, v100, v116
	v_exp_f32_e32 v36, v36
	v_dual_mul_f32 v112, 0x3fb8aa3b, v98 :: v_dual_sub_f32 v103, v103, v123
	v_fma_f32 v128, 0x3fb8aa3b, v91, -v106
	v_cvt_i32_f32_e32 v115, v115
	v_dual_fmac_f32 v122, 0x32a5705f, v88 :: v_dual_add_f32 v107, v107, v130
	v_fmac_f32_e32 v120, 0x32a5705f, v87
	v_dual_fmac_f32 v126, 0x32a5705f, v90 :: v_dual_add_f32 v113, v113, v144
	v_sub_f32_e32 v102, v102, v121
	v_exp_f32_e32 v100, v100
	v_fma_f32 v124, 0x3fb8aa3b, v89, -v104
	s_delay_alu instid0(VALU_DEP_3)
	v_add_f32_e32 v105, v105, v126
	v_rndne_f32_e32 v125, v104
	v_cvt_i32_f32_e32 v117, v117
	v_dual_fmac_f32 v128, 0x32a5705f, v91 :: v_dual_add_f32 v103, v103, v122
	v_exp_f32_e32 v101, v101
	v_ldexp_f32 v36, v36, v115
	v_cmp_ngt_f32_e64 s0, 0xc2ce8ed0, v22
	v_cvt_i32_f32_e32 v119, v119
	v_fmac_f32_e32 v134, 0x32a5705f, v94
	v_fmac_f32_e32 v124, 0x32a5705f, v89
	;; [unrolled: 1-line block ×3, first 2 shown]
	v_sub_f32_e32 v104, v104, v125
	v_ldexp_f32 v100, v100, v117
	v_cndmask_b32_e64 v36, 0, v36, s0
	v_cmp_ngt_f32_e64 s0, 0xc2ce8ed0, v33
	v_add_f32_e32 v111, v111, v138
	v_rndne_f32_e32 v129, v106
	v_cvt_i32_f32_e32 v121, v121
	v_dual_add_f32 v109, v109, v134 :: v_dual_add_f32 v104, v104, v124
	v_exp_f32_e32 v103, v103
	v_ldexp_f32 v101, v101, v119
	v_cndmask_b32_e64 v100, 0, v100, s0
	v_cmp_ngt_f32_e64 s0, 0xc2ce8ed0, v34
	v_cvt_i32_f32_e32 v123, v123
	v_exp_f32_e32 v104, v104
	v_fma_f32 v132, 0x3fb8aa3b, v93, -v108
	v_rndne_f32_e32 v133, v108
	v_cndmask_b32_e64 v101, 0, v101, s0
	v_cmp_ngt_f32_e64 s0, 0xc2ce8ed0, v87
	v_cvt_i32_f32_e32 v125, v125
	v_exp_f32_e32 v105, v105
	v_ldexp_f32 v103, v103, v123
	v_cvt_i32_f32_e32 v127, v127
	v_fmac_f32_e32 v132, 0x32a5705f, v93
	v_ldexp_f32 v104, v104, v125
	v_fma_f32 v136, 0x3fb8aa3b, v95, -v110
	v_rndne_f32_e32 v137, v110
	v_exp_f32_e32 v107, v107
	v_cvt_i32_f32_e32 v131, v131
	v_fma_f32 v140, 0x3fb8aa3b, v97, -v32
	v_ldexp_f32 v105, v105, v127
	v_fmac_f32_e32 v136, 0x32a5705f, v95
	v_rndne_f32_e32 v141, v32
	v_exp_f32_e32 v109, v109
	v_fma_f32 v142, 0x3fb8aa3b, v98, -v112
	v_rndne_f32_e32 v143, v112
	v_cvt_i32_f32_e32 v135, v135
	v_ldexp_f32 v107, v107, v131
	v_fmac_f32_e32 v140, 0x32a5705f, v97
	v_fmac_f32_e32 v142, 0x32a5705f, v98
	v_sub_f32_e32 v112, v112, v143
	v_exp_f32_e32 v111, v111
	v_cvt_i32_f32_e32 v139, v139
	v_ldexp_f32 v109, v109, v135
	v_cvt_i32_f32_e32 v143, v143
	v_add_f32_e32 v112, v112, v142
	v_exp_f32_e32 v113, v113
	v_cvt_i32_f32_e32 v145, v145
	s_delay_alu instid0(VALU_DEP_2) | instskip(NEXT) | instid1(TRANS32_DEP_3)
	v_exp_f32_e32 v112, v112
	v_ldexp_f32 v111, v111, v139
	s_waitcnt_depctr 0xfff
	v_ldexp_f32 v113, v113, v145
	v_ldexp_f32 v112, v112, v143
	s_waitcnt vmcnt(0)
	v_dual_mul_f32 v21, v23, v21 :: v_dual_add_f32 v102, v102, v120
	v_sub_f32_e32 v106, v106, v129
	v_sub_f32_e32 v108, v108, v133
	v_cvt_i32_f32_e32 v129, v129
	v_sub_f32_e32 v110, v110, v137
	v_exp_f32_e32 v102, v102
	v_add_f32_e32 v106, v106, v128
	v_add_f32_e32 v108, v108, v132
	v_cvt_i32_f32_e32 v133, v133
	v_add_f32_e32 v110, v110, v136
	v_sub_f32_e32 v32, v32, v141
	v_exp_f32_e32 v106, v106
	v_exp_f32_e32 v108, v108
	v_cvt_i32_f32_e32 v137, v137
	v_exp_f32_e32 v110, v110
	v_ldexp_f32 v102, v102, v121
	v_add_f32_e32 v32, v32, v140
	v_cvt_i32_f32_e32 v141, v141
	s_delay_alu instid0(VALU_DEP_3) | instskip(SKIP_1) | instid1(TRANS32_DEP_3)
	v_cndmask_b32_e64 v102, 0, v102, s0
	v_cmp_ngt_f32_e64 s0, 0xc2ce8ed0, v88
	v_ldexp_f32 v106, v106, v129
	s_delay_alu instid0(TRANS32_DEP_2) | instskip(SKIP_1) | instid1(TRANS32_DEP_2)
	v_ldexp_f32 v108, v108, v133
	v_exp_f32_e32 v32, v32
	v_ldexp_f32 v110, v110, v137
	v_cndmask_b32_e64 v103, 0, v103, s0
	v_cmp_ngt_f32_e64 s0, 0xc2ce8ed0, v89
	s_delay_alu instid0(VALU_DEP_1)
	v_cndmask_b32_e64 v104, 0, v104, s0
	v_cmp_ngt_f32_e64 s0, 0xc2ce8ed0, v90
	s_waitcnt_depctr 0xfff
	v_ldexp_f32 v32, v32, v141
	v_cndmask_b32_e64 v105, 0, v105, s0
	v_cmp_ngt_f32_e64 s0, 0xc2ce8ed0, v91
	s_delay_alu instid0(VALU_DEP_1) | instskip(SKIP_1) | instid1(VALU_DEP_1)
	v_cndmask_b32_e64 v106, 0, v106, s0
	v_cmp_ngt_f32_e64 s0, 0xc2ce8ed0, v92
	v_cndmask_b32_e64 v107, 0, v107, s0
	v_cmp_ngt_f32_e64 s0, 0xc2ce8ed0, v93
	s_delay_alu instid0(VALU_DEP_1) | instskip(SKIP_1) | instid1(VALU_DEP_1)
	v_cndmask_b32_e64 v108, 0, v108, s0
	v_cmp_ngt_f32_e64 s0, 0xc2ce8ed0, v94
	;; [unrolled: 5-line block ×4, first 2 shown]
	v_cndmask_b32_e64 v112, 0, v112, s0
	v_cmp_nlt_f32_e64 s0, 0x42b17218, v22
	s_waitcnt lgkmcnt(7)
	v_mul_f32_e32 v22, v21, v24
	s_delay_alu instid0(VALU_DEP_2) | instskip(SKIP_2) | instid1(VALU_DEP_3)
	v_cndmask_b32_e64 v23, 0x7f800000, v36, s0
	v_cmp_ngt_f32_e64 s0, 0xc2ce8ed0, v99
	v_mul_f32_e32 v36, v21, v25
	v_fmac_f32_e32 v22, v35, v23
	s_delay_alu instid0(VALU_DEP_3) | instskip(SKIP_2) | instid1(VALU_DEP_2)
	v_cndmask_b32_e64 v113, 0, v113, s0
	v_cmp_nlt_f32_e64 s0, 0x42b17218, v33
	v_mul_f32_e32 v23, v21, v26
	v_cndmask_b32_e64 v24, 0x7f800000, v100, s0
	v_cmp_nlt_f32_e64 s0, 0x42b17218, v34
	s_delay_alu instid0(VALU_DEP_2) | instskip(NEXT) | instid1(VALU_DEP_2)
	v_fmac_f32_e32 v36, v61, v24
	v_cndmask_b32_e64 v25, 0x7f800000, v101, s0
	v_cmp_nlt_f32_e64 s0, 0x42b17218, v87
	v_mul_f32_e32 v24, v21, v27
	s_delay_alu instid0(VALU_DEP_3) | instskip(NEXT) | instid1(VALU_DEP_3)
	v_fmac_f32_e32 v23, v37, v25
	v_cndmask_b32_e64 v26, 0x7f800000, v102, s0
	v_cmp_nlt_f32_e64 s0, 0x42b17218, v88
	s_waitcnt lgkmcnt(6)
	s_delay_alu instid0(VALU_DEP_2) | instskip(NEXT) | instid1(VALU_DEP_2)
	v_dual_mul_f32 v25, v21, v28 :: v_dual_fmac_f32 v24, v39, v26
	v_cndmask_b32_e64 v27, 0x7f800000, v103, s0
	v_cmp_nlt_f32_e64 s0, 0x42b17218, v89
	s_delay_alu instid0(VALU_DEP_2) | instskip(NEXT) | instid1(VALU_DEP_2)
	v_dual_mul_f32 v26, v21, v29 :: v_dual_fmac_f32 v25, v38, v27
	v_cndmask_b32_e64 v28, 0x7f800000, v104, s0
	v_cmp_nlt_f32_e64 s0, 0x42b17218, v90
	;; [unrolled: 4-line block ×4, first 2 shown]
	s_waitcnt lgkmcnt(5)
	v_mul_f32_e32 v29, v21, v63
	s_delay_alu instid0(VALU_DEP_2) | instskip(SKIP_1) | instid1(VALU_DEP_2)
	v_cndmask_b32_e64 v31, 0x7f800000, v107, s0
	v_cmp_nlt_f32_e64 s0, 0x42b17218, v93
	v_fmac_f32_e32 v29, v53, v31
	s_delay_alu instid0(VALU_DEP_2) | instskip(SKIP_2) | instid1(VALU_DEP_2)
	v_cndmask_b32_e64 v32, 0x7f800000, v108, s0
	v_cmp_nlt_f32_e64 s0, 0x42b17218, v94
	v_mul_f32_e32 v31, v21, v65
	v_cndmask_b32_e64 v33, 0x7f800000, v109, s0
	v_cmp_nlt_f32_e64 s0, 0x42b17218, v95
	s_delay_alu instid0(VALU_DEP_2) | instskip(NEXT) | instid1(VALU_DEP_2)
	v_fmac_f32_e32 v31, v56, v33
	v_cndmask_b32_e64 v34, 0x7f800000, v110, s0
	v_cmp_nlt_f32_e64 s0, 0x42b17218, v96
	s_waitcnt lgkmcnt(4)
	v_mul_f32_e32 v33, v21, v67
	s_delay_alu instid0(VALU_DEP_2) | instskip(SKIP_1) | instid1(VALU_DEP_2)
	v_cndmask_b32_e64 v35, 0x7f800000, v111, s0
	v_cmp_nlt_f32_e64 s0, 0x42b17218, v97
	v_fmac_f32_e32 v33, v58, v35
	s_delay_alu instid0(VALU_DEP_2) | instskip(SKIP_4) | instid1(VALU_DEP_3)
	v_cndmask_b32_e64 v37, 0x7f800000, v114, s0
	v_cmp_nlt_f32_e64 s0, 0x42b17218, v98
	v_mul_f32_e32 v35, v21, v69
	s_waitcnt lgkmcnt(3)
	v_fma_f32 v61, v71, v22, 0
	v_cndmask_b32_e64 v38, 0x7f800000, v112, s0
	v_cmp_nlt_f32_e64 s0, 0x42b17218, v99
	s_delay_alu instid0(VALU_DEP_2) | instskip(SKIP_3) | instid1(VALU_DEP_2)
	v_fmac_f32_e32 v35, v60, v38
	v_fmac_f32_e32 v28, v52, v30
	v_mul_f32_e32 v30, v21, v64
	v_fmac_f32_e32 v61, v72, v36
	v_fmac_f32_e32 v30, v54, v32
	v_mul_f32_e32 v32, v21, v66
	s_delay_alu instid0(VALU_DEP_3) | instskip(NEXT) | instid1(VALU_DEP_2)
	v_fmac_f32_e32 v61, v73, v23
	v_fmac_f32_e32 v32, v57, v34
	v_mul_f32_e32 v34, v21, v68
	s_delay_alu instid0(VALU_DEP_1) | instskip(SKIP_2) | instid1(VALU_DEP_1)
	v_dual_mul_f32 v21, v21, v70 :: v_dual_fmac_f32 v34, v59, v37
	v_cndmask_b32_e64 v37, 0x7f800000, v113, s0
	v_add_co_u32 v19, s0, v19, s18
	v_add_co_ci_u32_e64 v20, s0, s19, v20, s0
	s_delay_alu instid0(VALU_DEP_3) | instskip(SKIP_2) | instid1(VALU_DEP_1)
	v_fmac_f32_e32 v21, v62, v37
	v_fmac_f32_e32 v61, v74, v24
	s_waitcnt lgkmcnt(2)
	v_fmac_f32_e32 v61, v75, v25
	s_delay_alu instid0(VALU_DEP_1) | instskip(NEXT) | instid1(VALU_DEP_1)
	v_fmac_f32_e32 v61, v76, v26
	v_fmac_f32_e32 v61, v77, v27
	s_delay_alu instid0(VALU_DEP_1) | instskip(SKIP_1) | instid1(VALU_DEP_1)
	v_fmac_f32_e32 v61, v78, v28
	s_waitcnt lgkmcnt(1)
	v_fmac_f32_e32 v61, v79, v29
	s_delay_alu instid0(VALU_DEP_1) | instskip(NEXT) | instid1(VALU_DEP_1)
	v_fmac_f32_e32 v61, v80, v30
	v_fmac_f32_e32 v61, v81, v31
	s_delay_alu instid0(VALU_DEP_1) | instskip(SKIP_1) | instid1(VALU_DEP_1)
	v_fmac_f32_e32 v61, v82, v32
	s_waitcnt lgkmcnt(0)
	v_fmac_f32_e32 v61, v83, v33
	s_delay_alu instid0(VALU_DEP_1) | instskip(NEXT) | instid1(VALU_DEP_1)
	v_fmac_f32_e32 v61, v84, v34
	v_fmac_f32_e32 v61, v85, v35
	s_delay_alu instid0(VALU_DEP_1)
	v_fmac_f32_e32 v61, v86, v21
	global_store_b32 v[19:20], v61, off
	s_waitcnt_vscnt null, 0x0
	s_barrier
	buffer_gl0_inv
	s_and_saveexec_b32 s0, vcc_lo
	s_cbranch_execz .LBB9_30
; %bb.29:
	v_mad_i64_i32 v[19:20], null, s2, 28, v[43:44]
	v_mad_i64_i32 v[37:38], null, s10, 28, v[45:46]
	global_load_b32 v19, v[19:20], off
	global_load_b32 v20, v[37:38], off
	s_waitcnt vmcnt(1)
	ds_store_b32 v55, v19
	s_waitcnt vmcnt(0)
	ds_store_b32 v0, v20
.LBB9_30:
	s_or_b32 exec_lo, exec_lo, s0
	v_add_co_u32 v17, vcc_lo, v17, s8
	v_add_co_ci_u32_e32 v18, vcc_lo, s9, v18, vcc_lo
	s_waitcnt lgkmcnt(0)
	s_barrier
	buffer_gl0_inv
	global_load_b32 v0, v[17:18], off
	s_mov_b32 s1, exec_lo
	s_waitcnt vmcnt(0)
	v_cmpx_ge_f32_e32 0x41a00000, v0
	s_cbranch_execz .LBB9_32
; %bb.31:
	v_mul_f32_e32 v17, 0x3fb8aa3b, v0
	v_cmp_ngt_f32_e32 vcc_lo, 0xc2ce8ed0, v0
	s_mov_b32 s0, 0x3e9b6dac
	s_delay_alu instid0(VALU_DEP_2) | instskip(SKIP_1) | instid1(VALU_DEP_2)
	v_rndne_f32_e32 v18, v17
	v_fma_f32 v19, 0x3fb8aa3b, v0, -v17
	v_sub_f32_e32 v17, v17, v18
	s_delay_alu instid0(VALU_DEP_2) | instskip(SKIP_1) | instid1(VALU_DEP_2)
	v_fmamk_f32 v19, v0, 0x32a5705f, v19
	v_cvt_i32_f32_e32 v18, v18
	v_add_f32_e32 v17, v17, v19
	s_delay_alu instid0(VALU_DEP_1) | instskip(SKIP_2) | instid1(VALU_DEP_1)
	v_exp_f32_e32 v17, v17
	s_waitcnt_depctr 0xfff
	v_ldexp_f32 v17, v17, v18
	v_cndmask_b32_e32 v17, 0, v17, vcc_lo
	v_cmp_nlt_f32_e32 vcc_lo, 0x42b17218, v0
	s_delay_alu instid0(VALU_DEP_2) | instskip(NEXT) | instid1(VALU_DEP_1)
	v_cndmask_b32_e32 v0, 0x7f800000, v17, vcc_lo
	v_add_f32_e32 v19, 1.0, v0
	s_delay_alu instid0(VALU_DEP_1) | instskip(NEXT) | instid1(VALU_DEP_1)
	v_cvt_f64_f32_e32 v[17:18], v19
	v_frexp_exp_i32_f64_e32 v17, v[17:18]
	v_frexp_mant_f32_e32 v18, v19
	s_delay_alu instid0(VALU_DEP_1) | instskip(SKIP_1) | instid1(VALU_DEP_1)
	v_cmp_gt_f32_e32 vcc_lo, 0x3f2aaaab, v18
	v_add_f32_e32 v18, -1.0, v19
	v_dual_sub_f32 v37, v18, v19 :: v_dual_sub_f32 v18, v0, v18
	s_delay_alu instid0(VALU_DEP_1) | instskip(NEXT) | instid1(VALU_DEP_1)
	v_add_f32_e32 v37, 1.0, v37
	v_add_f32_e32 v18, v18, v37
	v_subrev_co_ci_u32_e32 v17, vcc_lo, 0, v17, vcc_lo
	v_cmp_eq_f32_e32 vcc_lo, 0x7f800000, v0
	s_delay_alu instid0(VALU_DEP_2) | instskip(SKIP_1) | instid1(VALU_DEP_2)
	v_sub_nc_u32_e32 v20, 0, v17
	v_cvt_f32_i32_e32 v17, v17
	v_ldexp_f32 v19, v19, v20
	v_ldexp_f32 v18, v18, v20
	s_delay_alu instid0(VALU_DEP_2) | instskip(NEXT) | instid1(VALU_DEP_1)
	v_add_f32_e32 v38, 1.0, v19
	v_dual_add_f32 v20, -1.0, v19 :: v_dual_add_f32 v37, -1.0, v38
	s_delay_alu instid0(VALU_DEP_1) | instskip(NEXT) | instid1(VALU_DEP_2)
	v_add_f32_e32 v39, 1.0, v20
	v_sub_f32_e32 v37, v19, v37
	s_delay_alu instid0(VALU_DEP_2) | instskip(NEXT) | instid1(VALU_DEP_2)
	v_sub_f32_e32 v19, v19, v39
	v_add_f32_e32 v37, v18, v37
	s_delay_alu instid0(VALU_DEP_2) | instskip(NEXT) | instid1(VALU_DEP_1)
	v_add_f32_e32 v18, v18, v19
	v_dual_add_f32 v40, v20, v18 :: v_dual_add_f32 v39, v38, v37
	s_delay_alu instid0(VALU_DEP_1) | instskip(NEXT) | instid1(VALU_DEP_2)
	v_sub_f32_e32 v20, v20, v40
	v_rcp_f32_e32 v19, v39
	v_sub_f32_e32 v38, v38, v39
	s_waitcnt_depctr 0xfff
	v_dual_add_f32 v18, v18, v20 :: v_dual_mul_f32 v43, v40, v19
	s_delay_alu instid0(VALU_DEP_1) | instskip(NEXT) | instid1(VALU_DEP_1)
	v_dual_mul_f32 v44, v39, v43 :: v_dual_add_f32 v37, v37, v38
	v_fma_f32 v38, v43, v39, -v44
	s_delay_alu instid0(VALU_DEP_1) | instskip(NEXT) | instid1(VALU_DEP_1)
	v_fmac_f32_e32 v38, v43, v37
	v_add_f32_e32 v45, v44, v38
	s_delay_alu instid0(VALU_DEP_1) | instskip(NEXT) | instid1(VALU_DEP_1)
	v_sub_f32_e32 v46, v40, v45
	v_sub_f32_e32 v40, v40, v46
	s_delay_alu instid0(VALU_DEP_1) | instskip(NEXT) | instid1(VALU_DEP_1)
	v_sub_f32_e32 v40, v40, v45
	v_add_f32_e32 v18, v18, v40
	v_sub_f32_e32 v20, v45, v44
	s_delay_alu instid0(VALU_DEP_1) | instskip(NEXT) | instid1(VALU_DEP_1)
	v_sub_f32_e32 v20, v20, v38
	v_add_f32_e32 v18, v20, v18
	s_delay_alu instid0(VALU_DEP_1) | instskip(NEXT) | instid1(VALU_DEP_1)
	v_add_f32_e32 v20, v46, v18
	v_mul_f32_e32 v38, v19, v20
	s_delay_alu instid0(VALU_DEP_1) | instskip(NEXT) | instid1(VALU_DEP_1)
	v_mul_f32_e32 v40, v39, v38
	v_fma_f32 v39, v38, v39, -v40
	s_delay_alu instid0(VALU_DEP_1) | instskip(NEXT) | instid1(VALU_DEP_1)
	v_fmac_f32_e32 v39, v38, v37
	v_add_f32_e32 v37, v40, v39
	s_delay_alu instid0(VALU_DEP_1) | instskip(NEXT) | instid1(VALU_DEP_1)
	v_dual_sub_f32 v45, v46, v20 :: v_dual_sub_f32 v44, v20, v37
	v_add_f32_e32 v18, v18, v45
	v_sub_f32_e32 v40, v37, v40
	s_delay_alu instid0(VALU_DEP_3) | instskip(NEXT) | instid1(VALU_DEP_1)
	v_sub_f32_e32 v20, v20, v44
	v_sub_f32_e32 v20, v20, v37
	s_delay_alu instid0(VALU_DEP_1) | instskip(SKIP_1) | instid1(VALU_DEP_1)
	v_dual_sub_f32 v37, v40, v39 :: v_dual_add_f32 v18, v18, v20
	v_add_f32_e32 v20, v43, v38
	v_dual_add_f32 v18, v37, v18 :: v_dual_sub_f32 v37, v20, v43
	s_delay_alu instid0(VALU_DEP_1) | instskip(NEXT) | instid1(VALU_DEP_1)
	v_dual_add_f32 v18, v44, v18 :: v_dual_sub_f32 v37, v38, v37
	v_mul_f32_e32 v18, v19, v18
	s_delay_alu instid0(VALU_DEP_1) | instskip(NEXT) | instid1(VALU_DEP_1)
	v_add_f32_e32 v18, v37, v18
	v_add_f32_e32 v19, v20, v18
	s_delay_alu instid0(VALU_DEP_1) | instskip(NEXT) | instid1(VALU_DEP_1)
	v_mul_f32_e32 v37, v19, v19
	v_fmaak_f32 v38, s0, v37, 0x3ecc95a3
	v_mul_f32_e32 v39, v19, v37
	v_cmp_gt_f32_e64 s0, 0x33800000, v0
	s_delay_alu instid0(VALU_DEP_3) | instskip(SKIP_1) | instid1(VALU_DEP_3)
	v_fmaak_f32 v37, v37, v38, 0x3f2aaada
	v_ldexp_f32 v38, v19, 1
	s_or_b32 vcc_lo, s0, vcc_lo
	s_delay_alu instid0(VALU_DEP_2) | instskip(SKIP_1) | instid1(VALU_DEP_2)
	v_mul_f32_e32 v37, v39, v37
	v_mul_f32_e32 v39, 0x3f317218, v17
	v_dual_sub_f32 v19, v19, v20 :: v_dual_add_f32 v20, v38, v37
	s_delay_alu instid0(VALU_DEP_1) | instskip(NEXT) | instid1(VALU_DEP_3)
	v_dual_sub_f32 v18, v18, v19 :: v_dual_sub_f32 v19, v20, v38
	v_fma_f32 v38, 0x3f317218, v17, -v39
	s_delay_alu instid0(VALU_DEP_2) | instskip(NEXT) | instid1(VALU_DEP_3)
	v_ldexp_f32 v18, v18, 1
	v_sub_f32_e32 v19, v37, v19
	s_delay_alu instid0(VALU_DEP_1) | instskip(NEXT) | instid1(VALU_DEP_1)
	v_dual_fmamk_f32 v17, v17, 0xb102e308, v38 :: v_dual_add_f32 v18, v18, v19
	v_add_f32_e32 v19, v39, v17
	s_delay_alu instid0(VALU_DEP_1) | instskip(NEXT) | instid1(VALU_DEP_3)
	v_sub_f32_e32 v39, v19, v39
	v_add_f32_e32 v37, v20, v18
	s_delay_alu instid0(VALU_DEP_1) | instskip(SKIP_1) | instid1(VALU_DEP_1)
	v_dual_sub_f32 v17, v17, v39 :: v_dual_add_f32 v38, v19, v37
	v_sub_f32_e32 v20, v37, v20
	v_sub_f32_e32 v18, v18, v20
	s_delay_alu instid0(VALU_DEP_3) | instskip(NEXT) | instid1(VALU_DEP_1)
	v_sub_f32_e32 v40, v38, v19
	v_sub_f32_e32 v20, v37, v40
	s_delay_alu instid0(VALU_DEP_3) | instskip(SKIP_1) | instid1(VALU_DEP_1)
	v_add_f32_e32 v37, v17, v18
	v_sub_f32_e32 v43, v38, v40
	v_sub_f32_e32 v19, v19, v43
	s_delay_alu instid0(VALU_DEP_1) | instskip(NEXT) | instid1(VALU_DEP_1)
	v_dual_add_f32 v19, v20, v19 :: v_dual_sub_f32 v20, v37, v17
	v_dual_add_f32 v19, v37, v19 :: v_dual_sub_f32 v18, v18, v20
	v_sub_f32_e32 v37, v37, v20
	s_delay_alu instid0(VALU_DEP_2) | instskip(NEXT) | instid1(VALU_DEP_1)
	v_add_f32_e32 v39, v38, v19
	v_dual_sub_f32 v17, v17, v37 :: v_dual_sub_f32 v20, v39, v38
	s_delay_alu instid0(VALU_DEP_1) | instskip(NEXT) | instid1(VALU_DEP_1)
	v_dual_add_f32 v17, v18, v17 :: v_dual_sub_f32 v18, v19, v20
	v_add_f32_e32 v17, v17, v18
	s_delay_alu instid0(VALU_DEP_1) | instskip(NEXT) | instid1(VALU_DEP_1)
	v_add_f32_e32 v17, v39, v17
	v_cndmask_b32_e32 v0, v17, v0, vcc_lo
.LBB9_32:
	s_or_b32 exec_lo, exec_lo, s1
	v_mad_i64_i32 v[17:18], null, s6, 28, v[49:50]
	s_delay_alu instid0(VALU_DEP_2) | instskip(SKIP_3) | instid1(VALU_DEP_2)
	v_dual_mul_f32 v54, v0, v13 :: v_dual_mov_b32 v49, 0
	v_mul_f32_e32 v57, v0, v16
	s_add_u32 s0, s30, s20
	s_mul_i32 s1, s14, s5
	v_mul_f32_e32 v70, 0x3fb8aa3b, v54
	global_load_b32 v53, v[17:18], off
	v_dual_mul_f32 v56, v0, v15 :: v_dual_mul_f32 v73, 0x3fb8aa3b, v57
	v_mul_f32_e32 v55, v0, v14
	v_fma_f32 v86, 0x3fb8aa3b, v54, -v70
	v_rndne_f32_e32 v87, v70
	s_delay_alu instid0(VALU_DEP_4) | instskip(NEXT) | instid1(VALU_DEP_4)
	v_mul_f32_e32 v72, 0x3fb8aa3b, v56
	v_dual_mul_f32 v58, v0, v9 :: v_dual_mul_f32 v71, 0x3fb8aa3b, v55
	v_mul_f32_e32 v61, v0, v12
	v_rndne_f32_e32 v93, v73
	v_sub_f32_e32 v70, v70, v87
	s_delay_alu instid0(VALU_DEP_4) | instskip(NEXT) | instid1(VALU_DEP_4)
	v_mul_f32_e32 v74, 0x3fb8aa3b, v58
	v_dual_mul_f32 v60, v0, v11 :: v_dual_mul_f32 v77, 0x3fb8aa3b, v61
	v_mul_f32_e32 v59, v0, v10
	v_fma_f32 v88, 0x3fb8aa3b, v55, -v71
	v_rndne_f32_e32 v89, v71
	s_delay_alu instid0(VALU_DEP_4) | instskip(NEXT) | instid1(VALU_DEP_4)
	v_mul_f32_e32 v76, 0x3fb8aa3b, v60
	v_dual_mul_f32 v62, v0, v5 :: v_dual_mul_f32 v75, 0x3fb8aa3b, v59
	v_dual_mul_f32 v65, v0, v8 :: v_dual_fmac_f32 v86, 0x32a5705f, v54
	s_delay_alu instid0(VALU_DEP_2) | instskip(NEXT) | instid1(VALU_DEP_2)
	v_dual_sub_f32 v71, v71, v89 :: v_dual_mul_f32 v78, 0x3fb8aa3b, v62
	v_dual_mul_f32 v64, v0, v7 :: v_dual_mul_f32 v81, 0x3fb8aa3b, v65
	v_mul_f32_e32 v63, v0, v6
	v_fma_f32 v92, 0x3fb8aa3b, v57, -v73
	v_rndne_f32_e32 v97, v75
	s_delay_alu instid0(VALU_DEP_4) | instskip(NEXT) | instid1(VALU_DEP_4)
	v_mul_f32_e32 v80, 0x3fb8aa3b, v64
	v_dual_mul_f32 v66, v0, v1 :: v_dual_mul_f32 v79, 0x3fb8aa3b, v63
	v_dual_mul_f32 v69, v0, v4 :: v_dual_fmac_f32 v88, 0x32a5705f, v55
	s_delay_alu instid0(VALU_DEP_2) | instskip(NEXT) | instid1(VALU_DEP_2)
	v_dual_sub_f32 v73, v73, v93 :: v_dual_mul_f32 v82, 0x3fb8aa3b, v66
	v_dual_mul_f32 v68, v0, v3 :: v_dual_mul_f32 v85, 0x3fb8aa3b, v69
	v_mul_f32_e32 v67, v0, v2
	v_add_f32_e32 v70, v70, v86
	v_fma_f32 v96, 0x3fb8aa3b, v59, -v75
	s_delay_alu instid0(VALU_DEP_4) | instskip(NEXT) | instid1(VALU_DEP_4)
	v_dual_mul_f32 v84, 0x3fb8aa3b, v68 :: v_dual_sub_f32 v75, v75, v97
	v_mul_f32_e32 v83, 0x3fb8aa3b, v67
	v_dual_fmac_f32 v92, 0x32a5705f, v57 :: v_dual_add_f32 v71, v71, v88
	v_exp_f32_e32 v70, v70
	v_cvt_i32_f32_e32 v87, v87
	v_fma_f32 v90, 0x3fb8aa3b, v56, -v72
	v_rndne_f32_e32 v91, v72
	v_exp_f32_e32 v71, v71
	v_cvt_i32_f32_e32 v89, v89
	v_cmp_ngt_f32_e32 vcc_lo, 0xc2ce8ed0, v54
	v_fma_f32 v98, 0x3fb8aa3b, v60, -v76
	v_rndne_f32_e32 v101, v77
	v_rndne_f32_e32 v105, v79
	v_ldexp_f32 v70, v70, v87
	v_fmac_f32_e32 v90, 0x32a5705f, v56
	v_sub_f32_e32 v72, v72, v91
	v_rndne_f32_e32 v99, v76
	v_ldexp_f32 v71, v71, v89
	v_cndmask_b32_e32 v70, 0, v70, vcc_lo
	v_cmp_ngt_f32_e32 vcc_lo, 0xc2ce8ed0, v55
	v_fma_f32 v100, 0x3fb8aa3b, v61, -v77
	v_fma_f32 v104, 0x3fb8aa3b, v63, -v79
	v_dual_fmac_f32 v98, 0x32a5705f, v60 :: v_dual_sub_f32 v77, v77, v101
	v_cndmask_b32_e32 v71, 0, v71, vcc_lo
	v_dual_sub_f32 v79, v79, v105 :: v_dual_add_f32 v72, v72, v90
	v_fma_f32 v94, 0x3fb8aa3b, v58, -v74
	v_rndne_f32_e32 v95, v74
	v_dual_sub_f32 v76, v76, v99 :: v_dual_add_f32 v73, v73, v92
	s_delay_alu instid0(VALU_DEP_4)
	v_exp_f32_e32 v72, v72
	v_rndne_f32_e32 v109, v81
	v_rndne_f32_e32 v113, v83
	v_cvt_i32_f32_e32 v91, v91
	v_fmac_f32_e32 v94, 0x32a5705f, v58
	v_sub_f32_e32 v74, v74, v95
	v_exp_f32_e32 v73, v73
	v_fma_f32 v108, 0x3fb8aa3b, v65, -v81
	v_fma_f32 v112, 0x3fb8aa3b, v67, -v83
	v_sub_f32_e32 v83, v83, v113
	v_fma_f32 v116, 0x3fb8aa3b, v69, -v85
	v_rndne_f32_e32 v117, v85
	v_cvt_i32_f32_e32 v93, v93
	v_dual_fmac_f32 v96, 0x32a5705f, v59 :: v_dual_sub_f32 v81, v81, v109
	v_add_f32_e32 v74, v74, v94
	v_ldexp_f32 v72, v72, v91
	v_cmp_ngt_f32_e32 vcc_lo, 0xc2ce8ed0, v56
	ds_load_b128 v[1:4], v49
	ds_load_b128 v[5:8], v49 offset:16
	ds_load_b128 v[9:12], v49 offset:32
	;; [unrolled: 1-line block ×3, first 2 shown]
	v_fma_f32 v106, 0x3fb8aa3b, v64, -v80
	v_fmac_f32_e32 v116, 0x32a5705f, v69
	v_sub_f32_e32 v85, v85, v117
	v_dual_fmac_f32 v100, 0x32a5705f, v61 :: v_dual_add_f32 v75, v75, v96
	v_fmac_f32_e32 v108, 0x32a5705f, v65
	v_ldexp_f32 v73, v73, v93
	s_delay_alu instid0(VALU_DEP_4)
	v_add_f32_e32 v85, v85, v116
	v_fma_f32 v102, 0x3fb8aa3b, v62, -v78
	v_rndne_f32_e32 v103, v78
	v_cvt_i32_f32_e32 v95, v95
	v_dual_fmac_f32 v104, 0x32a5705f, v63 :: v_dual_add_f32 v81, v81, v108
	v_exp_f32_e32 v75, v75
	v_rndne_f32_e32 v115, v84
	v_cvt_i32_f32_e32 v97, v97
	v_dual_fmac_f32 v102, 0x32a5705f, v62 :: v_dual_add_f32 v77, v77, v100
	v_dual_sub_f32 v78, v78, v103 :: v_dual_add_f32 v79, v79, v104
	v_exp_f32_e32 v81, v81
	v_rndne_f32_e32 v107, v80
	v_fma_f32 v110, 0x3fb8aa3b, v66, -v82
	v_fma_f32 v114, 0x3fb8aa3b, v68, -v84
	v_cvt_i32_f32_e32 v99, v99
	v_cvt_i32_f32_e32 v109, v109
	v_exp_f32_e32 v77, v77
	v_ldexp_f32 v75, v75, v97
	v_cvt_i32_f32_e32 v101, v101
	v_rndne_f32_e32 v111, v82
	v_ldexp_f32 v81, v81, v109
	v_fmac_f32_e32 v112, 0x32a5705f, v67
	v_sub_f32_e32 v80, v80, v107
	v_cvt_i32_f32_e32 v103, v103
	v_exp_f32_e32 v79, v79
	v_cvt_i32_f32_e32 v105, v105
	v_add_f32_e32 v83, v83, v112
	v_ldexp_f32 v77, v77, v101
	ds_load_b128 v[17:20], v49 offset:64
	ds_load_b128 v[37:40], v49 offset:80
	v_cvt_i32_f32_e32 v107, v107
	v_cvt_i32_f32_e32 v113, v113
	v_exp_f32_e32 v83, v83
	ds_load_b128 v[43:46], v49 offset:96
	ds_load_b128 v[49:52], v49 offset:112
	v_exp_f32_e32 v85, v85
	v_ldexp_f32 v79, v79, v105
	v_cvt_i32_f32_e32 v117, v117
	s_addc_u32 s2, s31, s21
	s_add_u32 s0, s0, s1
	s_addc_u32 s1, s2, 0
	s_add_u32 s0, s0, s28
	s_addc_u32 s1, s1, s29
	v_ldexp_f32 v83, v83, v113
	s_waitcnt_depctr 0xfff
	v_ldexp_f32 v85, v85, v117
	s_waitcnt vmcnt(0)
	v_mul_f32_e32 v53, v0, v53
	v_exp_f32_e32 v74, v74
	v_cndmask_b32_e32 v72, 0, v72, vcc_lo
	v_cmp_ngt_f32_e32 vcc_lo, 0xc2ce8ed0, v57
	v_fmac_f32_e32 v106, 0x32a5705f, v64
	v_sub_f32_e32 v84, v84, v115
	s_waitcnt lgkmcnt(7)
	v_mul_f32_e32 v0, v53, v1
	v_mul_f32_e32 v1, v53, v2
	v_dual_cndmask_b32 v73, 0, v73 :: v_dual_add_f32 v76, v76, v98
	v_cmp_ngt_f32_e32 vcc_lo, 0xc2ce8ed0, v58
	v_ldexp_f32 v74, v74, v95
	v_add_f32_e32 v78, v78, v102
	v_add_f32_e32 v80, v80, v106
	v_exp_f32_e32 v76, v76
	v_mul_f32_e32 v2, v53, v3
	v_cndmask_b32_e32 v74, 0, v74, vcc_lo
	v_cmp_ngt_f32_e32 vcc_lo, 0xc2ce8ed0, v59
	v_fmac_f32_e32 v110, 0x32a5705f, v66
	v_exp_f32_e32 v78, v78
	v_mul_f32_e32 v3, v53, v4
	s_waitcnt lgkmcnt(6)
	v_dual_mul_f32 v4, v53, v5 :: v_dual_cndmask_b32 v75, 0, v75
	v_cmp_ngt_f32_e32 vcc_lo, 0xc2ce8ed0, v60
	v_ldexp_f32 v76, v76, v99
	v_mul_f32_e32 v5, v53, v6
	v_mul_f32_e32 v6, v53, v7
	;; [unrolled: 1-line block ×3, first 2 shown]
	v_exp_f32_e32 v80, v80
	v_cndmask_b32_e32 v76, 0, v76, vcc_lo
	v_cmp_ngt_f32_e32 vcc_lo, 0xc2ce8ed0, v61
	v_sub_f32_e32 v82, v82, v111
	v_ldexp_f32 v78, v78, v103
	s_waitcnt lgkmcnt(5)
	v_mul_f32_e32 v8, v53, v9
	v_mul_f32_e32 v9, v53, v10
	v_cndmask_b32_e32 v77, 0, v77, vcc_lo
	v_cmp_ngt_f32_e32 vcc_lo, 0xc2ce8ed0, v62
	v_add_f32_e32 v82, v82, v110
	v_ldexp_f32 v80, v80, v107
	v_cvt_i32_f32_e32 v111, v111
	v_mul_f32_e32 v10, v53, v11
	v_cndmask_b32_e32 v78, 0, v78, vcc_lo
	v_cmp_ngt_f32_e32 vcc_lo, 0xc2ce8ed0, v63
	v_fmac_f32_e32 v114, 0x32a5705f, v68
	v_exp_f32_e32 v82, v82
	v_mul_f32_e32 v11, v53, v12
	v_cvt_i32_f32_e32 v115, v115
	v_cndmask_b32_e32 v79, 0, v79, vcc_lo
	v_cmp_ngt_f32_e32 vcc_lo, 0xc2ce8ed0, v64
	v_add_f32_e32 v84, v84, v114
	s_waitcnt lgkmcnt(4)
	v_mul_f32_e32 v12, v53, v13
	v_mul_f32_e32 v13, v53, v14
	v_mul_f32_e32 v14, v53, v15
	v_cndmask_b32_e32 v80, 0, v80, vcc_lo
	v_cmp_ngt_f32_e32 vcc_lo, 0xc2ce8ed0, v65
	v_exp_f32_e32 v84, v84
	v_ldexp_f32 v82, v82, v111
	v_mul_f32_e32 v15, v53, v16
	v_cndmask_b32_e32 v81, 0, v81, vcc_lo
	v_cmp_ngt_f32_e32 vcc_lo, 0xc2ce8ed0, v66
	s_delay_alu instid0(VALU_DEP_4) | instskip(SKIP_1) | instid1(TRANS32_DEP_1)
	v_cndmask_b32_e32 v82, 0, v82, vcc_lo
	v_cmp_ngt_f32_e32 vcc_lo, 0xc2ce8ed0, v67
	v_ldexp_f32 v84, v84, v115
	v_cndmask_b32_e32 v83, 0, v83, vcc_lo
	v_cmp_ngt_f32_e32 vcc_lo, 0xc2ce8ed0, v68
	s_delay_alu instid0(VALU_DEP_3) | instskip(SKIP_3) | instid1(VALU_DEP_2)
	v_cndmask_b32_e32 v84, 0, v84, vcc_lo
	v_cmp_nlt_f32_e32 vcc_lo, 0x42b17218, v54
	v_cndmask_b32_e32 v54, 0x7f800000, v70, vcc_lo
	v_cmp_ngt_f32_e32 vcc_lo, 0xc2ce8ed0, v69
	v_fmac_f32_e32 v0, v22, v54
	v_cndmask_b32_e32 v70, 0, v85, vcc_lo
	v_cmp_nlt_f32_e32 vcc_lo, 0x42b17218, v55
	v_cndmask_b32_e32 v55, 0x7f800000, v71, vcc_lo
	v_cmp_nlt_f32_e32 vcc_lo, 0x42b17218, v56
	s_delay_alu instid0(VALU_DEP_2)
	v_dual_fmac_f32 v1, v36, v55 :: v_dual_cndmask_b32 v22, 0x7f800000, v72
	v_cmp_nlt_f32_e32 vcc_lo, 0x42b17218, v57
	s_waitcnt lgkmcnt(3)
	v_fma_f32 v36, v17, v0, 0
	v_cndmask_b32_e32 v17, 0x7f800000, v73, vcc_lo
	v_cmp_nlt_f32_e32 vcc_lo, 0x42b17218, v58
	s_delay_alu instid0(VALU_DEP_3) | instskip(NEXT) | instid1(VALU_DEP_3)
	v_fmac_f32_e32 v36, v18, v1
	v_dual_fmac_f32 v3, v24, v17 :: v_dual_cndmask_b32 v18, 0x7f800000, v74
	v_cmp_nlt_f32_e32 vcc_lo, 0x42b17218, v59
	s_delay_alu instid0(VALU_DEP_2) | instskip(SKIP_1) | instid1(VALU_DEP_2)
	v_dual_fmac_f32 v4, v25, v18 :: v_dual_cndmask_b32 v17, 0x7f800000, v75
	v_cmp_nlt_f32_e32 vcc_lo, 0x42b17218, v60
	v_dual_fmac_f32 v5, v26, v17 :: v_dual_cndmask_b32 v18, 0x7f800000, v76
	v_cmp_nlt_f32_e32 vcc_lo, 0x42b17218, v61
	s_delay_alu instid0(VALU_DEP_2) | instskip(SKIP_1) | instid1(VALU_DEP_2)
	v_dual_fmac_f32 v6, v27, v18 :: v_dual_cndmask_b32 v17, 0x7f800000, v77
	v_cmp_nlt_f32_e32 vcc_lo, 0x42b17218, v62
	;; [unrolled: 5-line block ×4, first 2 shown]
	v_dual_fmac_f32 v11, v32, v17 :: v_dual_cndmask_b32 v18, 0x7f800000, v82
	v_cmp_nlt_f32_e32 vcc_lo, 0x42b17218, v67
	v_fmac_f32_e32 v2, v23, v22
	s_delay_alu instid0(VALU_DEP_3) | instskip(NEXT) | instid1(VALU_DEP_2)
	v_dual_fmac_f32 v12, v33, v18 :: v_dual_cndmask_b32 v17, 0x7f800000, v83
	v_fmac_f32_e32 v36, v19, v2
	v_cmp_nlt_f32_e32 vcc_lo, 0x42b17218, v68
	s_delay_alu instid0(VALU_DEP_2) | instskip(SKIP_3) | instid1(VALU_DEP_3)
	v_fmac_f32_e32 v36, v20, v3
	v_cndmask_b32_e32 v18, 0x7f800000, v84, vcc_lo
	v_cmp_nlt_f32_e32 vcc_lo, 0x42b17218, v69
	s_waitcnt lgkmcnt(2)
	v_fmac_f32_e32 v36, v37, v4
	s_delay_alu instid0(VALU_DEP_3) | instskip(SKIP_2) | instid1(VALU_DEP_2)
	v_fmac_f32_e32 v14, v35, v18
	v_cndmask_b32_e32 v19, 0x7f800000, v70, vcc_lo
	v_add_co_u32 v18, vcc_lo, s0, v41
	v_dual_fmac_f32 v36, v38, v5 :: v_dual_fmac_f32 v15, v21, v19
	v_add_co_ci_u32_e32 v19, vcc_lo, s1, v42, vcc_lo
	s_delay_alu instid0(VALU_DEP_2) | instskip(NEXT) | instid1(VALU_DEP_1)
	v_fmac_f32_e32 v36, v39, v6
	v_fmac_f32_e32 v36, v40, v7
	s_waitcnt lgkmcnt(1)
	s_delay_alu instid0(VALU_DEP_1) | instskip(NEXT) | instid1(VALU_DEP_1)
	v_fmac_f32_e32 v36, v43, v8
	v_fmac_f32_e32 v36, v44, v9
	s_delay_alu instid0(VALU_DEP_1) | instskip(NEXT) | instid1(VALU_DEP_1)
	v_fmac_f32_e32 v36, v45, v10
	v_fmac_f32_e32 v36, v46, v11
	v_fmac_f32_e32 v13, v34, v17
	v_mad_i64_i32 v[16:17], null, s12, 28, v[47:48]
	s_waitcnt lgkmcnt(0)
	s_delay_alu instid0(VALU_DEP_3) | instskip(NEXT) | instid1(VALU_DEP_1)
	v_fmac_f32_e32 v36, v49, v12
	v_fmac_f32_e32 v36, v50, v13
	s_delay_alu instid0(VALU_DEP_1) | instskip(NEXT) | instid1(VALU_DEP_1)
	v_fmac_f32_e32 v36, v51, v14
	v_fmac_f32_e32 v36, v52, v15
	global_store_b32 v[16:17], v36, off
	s_waitcnt_vscnt null, 0x0
	s_barrier
	buffer_gl0_inv
	s_clause 0x3
	global_store_b128 v[18:19], v[0:3], off
	global_store_b128 v[18:19], v[4:7], off offset:16
	global_store_b128 v[18:19], v[8:11], off offset:32
	;; [unrolled: 1-line block ×3, first 2 shown]
	s_nop 0
	s_sendmsg sendmsg(MSG_DEALLOC_VGPRS)
	s_endpgm
	.section	.rodata,"a",@progbits
	.p2align	6, 0x0
	.amdhsa_kernel _Z12ssm_scan_f32ILm128ELm16ELm8EEvPKfS1_S1_S1_S1_S1_PKiPfiiiiiiiiiiilll
		.amdhsa_group_segment_fixed_size 128
		.amdhsa_private_segment_fixed_size 0
		.amdhsa_kernarg_size 136
		.amdhsa_user_sgpr_count 14
		.amdhsa_user_sgpr_dispatch_ptr 0
		.amdhsa_user_sgpr_queue_ptr 0
		.amdhsa_user_sgpr_kernarg_segment_ptr 1
		.amdhsa_user_sgpr_dispatch_id 0
		.amdhsa_user_sgpr_private_segment_size 0
		.amdhsa_wavefront_size32 1
		.amdhsa_uses_dynamic_stack 0
		.amdhsa_enable_private_segment 0
		.amdhsa_system_sgpr_workgroup_id_x 1
		.amdhsa_system_sgpr_workgroup_id_y 1
		.amdhsa_system_sgpr_workgroup_id_z 0
		.amdhsa_system_sgpr_workgroup_info 0
		.amdhsa_system_vgpr_workitem_id 0
		.amdhsa_next_free_vgpr 146
		.amdhsa_next_free_sgpr 40
		.amdhsa_reserve_vcc 1
		.amdhsa_float_round_mode_32 0
		.amdhsa_float_round_mode_16_64 0
		.amdhsa_float_denorm_mode_32 3
		.amdhsa_float_denorm_mode_16_64 3
		.amdhsa_dx10_clamp 1
		.amdhsa_ieee_mode 1
		.amdhsa_fp16_overflow 0
		.amdhsa_workgroup_processor_mode 1
		.amdhsa_memory_ordered 1
		.amdhsa_forward_progress 0
		.amdhsa_shared_vgpr_count 0
		.amdhsa_exception_fp_ieee_invalid_op 0
		.amdhsa_exception_fp_denorm_src 0
		.amdhsa_exception_fp_ieee_div_zero 0
		.amdhsa_exception_fp_ieee_overflow 0
		.amdhsa_exception_fp_ieee_underflow 0
		.amdhsa_exception_fp_ieee_inexact 0
		.amdhsa_exception_int_div_zero 0
	.end_amdhsa_kernel
	.section	.text._Z12ssm_scan_f32ILm128ELm16ELm8EEvPKfS1_S1_S1_S1_S1_PKiPfiiiiiiiiiiilll,"axG",@progbits,_Z12ssm_scan_f32ILm128ELm16ELm8EEvPKfS1_S1_S1_S1_S1_PKiPfiiiiiiiiiiilll,comdat
.Lfunc_end9:
	.size	_Z12ssm_scan_f32ILm128ELm16ELm8EEvPKfS1_S1_S1_S1_S1_PKiPfiiiiiiiiiiilll, .Lfunc_end9-_Z12ssm_scan_f32ILm128ELm16ELm8EEvPKfS1_S1_S1_S1_S1_PKiPfiiiiiiiiiiilll
                                        ; -- End function
	.section	.AMDGPU.csdata,"",@progbits
; Kernel info:
; codeLenInByte = 25140
; NumSgprs: 42
; NumVgprs: 146
; ScratchSize: 0
; MemoryBound: 0
; FloatMode: 240
; IeeeMode: 1
; LDSByteSize: 128 bytes/workgroup (compile time only)
; SGPRBlocks: 5
; VGPRBlocks: 18
; NumSGPRsForWavesPerEU: 42
; NumVGPRsForWavesPerEU: 146
; Occupancy: 9
; WaveLimiterHint : 1
; COMPUTE_PGM_RSRC2:SCRATCH_EN: 0
; COMPUTE_PGM_RSRC2:USER_SGPR: 14
; COMPUTE_PGM_RSRC2:TRAP_HANDLER: 0
; COMPUTE_PGM_RSRC2:TGID_X_EN: 1
; COMPUTE_PGM_RSRC2:TGID_Y_EN: 1
; COMPUTE_PGM_RSRC2:TGID_Z_EN: 0
; COMPUTE_PGM_RSRC2:TIDIG_COMP_CNT: 0
	.section	.text._Z12ssm_scan_f32ILm128ELm16ELm0EEvPKfS1_S1_S1_S1_S1_PKiPfiiiiiiiiiiilll,"axG",@progbits,_Z12ssm_scan_f32ILm128ELm16ELm0EEvPKfS1_S1_S1_S1_S1_PKiPfiiiiiiiiiiilll,comdat
	.protected	_Z12ssm_scan_f32ILm128ELm16ELm0EEvPKfS1_S1_S1_S1_S1_PKiPfiiiiiiiiiiilll ; -- Begin function _Z12ssm_scan_f32ILm128ELm16ELm0EEvPKfS1_S1_S1_S1_S1_PKiPfiiiiiiiiiiilll
	.globl	_Z12ssm_scan_f32ILm128ELm16ELm0EEvPKfS1_S1_S1_S1_S1_PKiPfiiiiiiiiiiilll
	.p2align	8
	.type	_Z12ssm_scan_f32ILm128ELm16ELm0EEvPKfS1_S1_S1_S1_S1_PKiPfiiiiiiiiiiilll,@function
_Z12ssm_scan_f32ILm128ELm16ELm0EEvPKfS1_S1_S1_S1_S1_PKiPfiiiiiiiiiiilll: ; @_Z12ssm_scan_f32ILm128ELm16ELm0EEvPKfS1_S1_S1_S1_S1_PKiPfiiiiiiiiiiilll
; %bb.0:
	s_load_b512 s[16:31], s[0:1], 0x0
	s_mov_b32 s2, s15
	s_mov_b32 s15, 0
	v_mov_b32_e32 v52, 0
	s_lshl_b64 s[4:5], s[14:15], 2
	s_waitcnt lgkmcnt(0)
	s_add_u32 s12, s28, s4
	s_addc_u32 s13, s29, s5
	s_load_b256 s[4:11], s[0:1], 0x40
	s_load_b32 s3, s[12:13], 0x0
	s_waitcnt lgkmcnt(0)
	s_mul_i32 s12, s3, s5
	s_mov_b32 s3, s15
	s_ashr_i32 s13, s12, 31
	s_add_u32 s12, s16, s12
	s_addc_u32 s13, s17, s13
	s_lshl_b64 s[16:17], s[2:3], 7
	s_ashr_i32 s15, s4, 31
	s_lshr_b32 s28, s2, 25
	s_mul_i32 s15, s16, s15
	s_mul_hi_u32 s29, s16, s4
	s_mul_i32 s28, s28, s4
	s_add_i32 s29, s29, s15
	s_mul_i32 s15, s16, s4
	s_add_i32 s28, s29, s28
	s_add_u32 s12, s12, s15
	s_addc_u32 s13, s13, s28
	s_ashr_i32 s4, s4, 2
	s_delay_alu instid0(SALU_CYCLE_1) | instskip(NEXT) | instid1(VALU_DEP_1)
	v_mul_lo_u32 v51, s4, v0
	v_lshlrev_b64 v[49:50], 2, v[51:52]
	s_delay_alu instid0(VALU_DEP_1) | instskip(NEXT) | instid1(VALU_DEP_2)
	v_add_co_u32 v1, vcc_lo, s12, v49
	v_add_co_ci_u32_e32 v2, vcc_lo, s13, v50, vcc_lo
	s_clause 0x3
	global_load_b128 v[29:32], v[1:2], off
	global_load_b128 v[25:28], v[1:2], off offset:16
	global_load_b128 v[21:24], v[1:2], off offset:32
	;; [unrolled: 1-line block ×3, first 2 shown]
	s_clause 0x1
	s_load_b64 s[12:13], s[0:1], 0x80
	s_load_b128 s[36:39], s[0:1], 0x70
	s_waitcnt lgkmcnt(0)
	s_cmp_eq_u64 s[12:13], 0
	s_cbranch_scc1 .LBB10_7
; %bb.1:
	s_ashr_i32 s4, s10, 31
	s_mul_hi_u32 s29, s16, s10
	s_mul_i32 s4, s16, s4
	s_mul_i32 s17, s17, s10
	s_add_i32 s4, s29, s4
	s_mul_i32 s16, s16, s10
	s_add_i32 s4, s4, s17
	s_add_u32 s16, s22, s16
	s_addc_u32 s4, s23, s4
	s_ashr_i32 s10, s10, 2
	s_load_b128 s[40:43], s[0:1], 0x60
	v_mul_lo_u32 v51, s10, v0
	s_mul_i32 s0, s14, s39
	s_mul_hi_u32 s1, s14, s38
	s_delay_alu instid0(SALU_CYCLE_1) | instskip(NEXT) | instid1(SALU_CYCLE_1)
	s_add_i32 s0, s1, s0
	s_mul_i32 s0, s0, s12
	s_delay_alu instid0(VALU_DEP_1) | instskip(SKIP_1) | instid1(VALU_DEP_2)
	v_lshlrev_b64 v[1:2], 2, v[51:52]
	v_lshlrev_b32_e32 v51, 2, v0
	v_add_co_u32 v13, vcc_lo, s16, v1
	s_delay_alu instid0(VALU_DEP_3)
	v_add_co_ci_u32_e32 v14, vcc_lo, s4, v2, vcc_lo
	s_mul_i32 s4, s14, s38
	s_waitcnt lgkmcnt(0)
	s_ashr_i32 s16, s41, 2
	s_clause 0x3
	global_load_b128 v[1:4], v[13:14], off
	global_load_b128 v[5:8], v[13:14], off offset:16
	global_load_b128 v[9:12], v[13:14], off offset:32
	;; [unrolled: 1-line block ×3, first 2 shown]
	s_mul_i32 s1, s4, s13
	s_mul_hi_u32 s10, s4, s12
	v_cmp_gt_u32_e32 vcc_lo, 16, v0
	s_add_i32 s1, s10, s1
	s_ashr_i32 s10, s8, 2
	s_add_i32 s1, s1, s0
	s_mul_i32 s0, s4, s12
	v_add_nc_u32_e32 v0, 64, v51
	s_lshl_b64 s[0:1], s[0:1], 2
	s_delay_alu instid0(SALU_CYCLE_1)
	s_add_u32 s4, s30, s0
	s_addc_u32 s8, s31, s1
	s_lshl_b64 s[0:1], s[2:3], 9
	s_mul_i32 s2, s14, s42
	s_add_u32 s4, s4, s0
	s_addc_u32 s8, s8, s1
	s_add_u32 s3, s26, s2
	s_mul_i32 s2, s14, s40
	s_addc_u32 s22, s27, 0
	s_add_u32 s17, s24, s2
	s_mul_i32 s2, s14, s9
	s_addc_u32 s9, s25, 0
	s_add_u32 s2, s20, s2
	s_addc_u32 s20, s21, 0
	s_add_u32 s21, s2, s0
	s_mul_i32 s2, s14, s7
	s_addc_u32 s7, s20, s1
	s_add_u32 s2, s18, s2
	s_addc_u32 s18, s19, 0
	s_add_u32 s19, s2, s0
	s_addc_u32 s18, s18, s1
	s_ashr_i32 s2, s6, 2
	v_add_co_u32 v53, s6, s17, v51
	v_add_co_u32 v55, s3, s3, v51
	v_add_co_ci_u32_e64 v54, null, s9, 0, s6
	v_add_co_ci_u32_e64 v56, null, s22, 0, s3
	v_add_co_u32 v57, s3, s21, v51
	v_add_co_u32 v59, s6, s19, v51
	v_add_co_u32 v61, s4, s4, v51
	s_ashr_i32 s0, s11, 2
	v_add_co_ci_u32_e64 v58, null, s7, 0, s3
	v_add_co_ci_u32_e64 v60, null, s18, 0, s6
	;; [unrolled: 1-line block ×3, first 2 shown]
	s_ashr_i32 s1, s0, 31
	s_ashr_i32 s17, s16, 31
	s_ashr_i32 s11, s10, 31
	s_ashr_i32 s3, s2, 31
	s_bfe_i64 s[6:7], s[38:39], 0x200000
	s_lshl_b64 s[8:9], s[2:3], 2
	s_lshl_b64 s[6:7], s[6:7], 2
	;; [unrolled: 1-line block ×5, first 2 shown]
	s_mov_b32 s4, 0x3e9b6dac
	s_and_saveexec_b32 s0, vcc_lo
	s_cbranch_execz .LBB10_3
.LBB10_2:
	global_load_b32 v33, v[53:54], off
	global_load_b32 v34, v[55:56], off
	s_waitcnt vmcnt(1)
	ds_store_b32 v51, v33
	s_waitcnt vmcnt(0)
	ds_store_b32 v0, v34
.LBB10_3:                               ; =>This Inner Loop Header: Depth=1
	s_or_b32 exec_lo, exec_lo, s0
	s_waitcnt vmcnt(0) lgkmcnt(0)
	s_barrier
	buffer_gl0_inv
	global_load_b32 v33, v[57:58], off
	s_mov_b32 s2, exec_lo
	s_waitcnt vmcnt(0)
	v_cmpx_ge_f32_e32 0x41a00000, v33
	s_cbranch_execz .LBB10_5
; %bb.4:                                ;   in Loop: Header=BB10_3 Depth=1
	v_mul_f32_e32 v34, 0x3fb8aa3b, v33
	v_cmp_ngt_f32_e64 s0, 0xc2ce8ed0, v33
	s_delay_alu instid0(VALU_DEP_2) | instskip(SKIP_1) | instid1(VALU_DEP_2)
	v_rndne_f32_e32 v35, v34
	v_fma_f32 v36, 0x3fb8aa3b, v33, -v34
	v_sub_f32_e32 v34, v34, v35
	s_delay_alu instid0(VALU_DEP_2) | instskip(SKIP_1) | instid1(VALU_DEP_2)
	v_fmac_f32_e32 v36, 0x32a5705f, v33
	v_cvt_i32_f32_e32 v35, v35
	v_add_f32_e32 v34, v34, v36
	s_delay_alu instid0(VALU_DEP_1) | instskip(SKIP_2) | instid1(VALU_DEP_1)
	v_exp_f32_e32 v34, v34
	s_waitcnt_depctr 0xfff
	v_ldexp_f32 v34, v34, v35
	v_cndmask_b32_e64 v34, 0, v34, s0
	v_cmp_nlt_f32_e64 s0, 0x42b17218, v33
	s_delay_alu instid0(VALU_DEP_1) | instskip(NEXT) | instid1(VALU_DEP_1)
	v_cndmask_b32_e64 v35, 0x7f800000, v34, s0
	v_add_f32_e32 v36, 1.0, v35
	v_cmp_gt_f32_e64 s1, 0x33800000, v35
	s_delay_alu instid0(VALU_DEP_2) | instskip(NEXT) | instid1(VALU_DEP_1)
	v_cvt_f64_f32_e32 v[33:34], v36
	v_frexp_exp_i32_f64_e32 v33, v[33:34]
	v_frexp_mant_f32_e32 v34, v36
	s_delay_alu instid0(VALU_DEP_1) | instskip(SKIP_1) | instid1(VALU_DEP_1)
	v_cmp_gt_f32_e64 s0, 0x3f2aaaab, v34
	v_add_f32_e32 v34, -1.0, v36
	v_sub_f32_e32 v38, v34, v36
	v_sub_f32_e32 v34, v35, v34
	s_delay_alu instid0(VALU_DEP_2) | instskip(NEXT) | instid1(VALU_DEP_1)
	v_add_f32_e32 v38, 1.0, v38
	v_add_f32_e32 v34, v34, v38
	v_subrev_co_ci_u32_e64 v33, s0, 0, v33, s0
	v_cmp_eq_f32_e64 s0, 0x7f800000, v35
	s_delay_alu instid0(VALU_DEP_2) | instskip(SKIP_1) | instid1(VALU_DEP_3)
	v_sub_nc_u32_e32 v37, 0, v33
	v_cvt_f32_i32_e32 v33, v33
	s_or_b32 s0, s1, s0
	s_delay_alu instid0(VALU_DEP_2) | instskip(SKIP_1) | instid1(VALU_DEP_2)
	v_ldexp_f32 v36, v36, v37
	v_ldexp_f32 v34, v34, v37
	v_add_f32_e32 v39, 1.0, v36
	s_delay_alu instid0(VALU_DEP_1) | instskip(NEXT) | instid1(VALU_DEP_1)
	v_dual_add_f32 v37, -1.0, v36 :: v_dual_add_f32 v38, -1.0, v39
	v_add_f32_e32 v40, 1.0, v37
	s_delay_alu instid0(VALU_DEP_2) | instskip(NEXT) | instid1(VALU_DEP_2)
	v_sub_f32_e32 v38, v36, v38
	v_sub_f32_e32 v36, v36, v40
	s_delay_alu instid0(VALU_DEP_2) | instskip(NEXT) | instid1(VALU_DEP_1)
	v_add_f32_e32 v38, v34, v38
	v_add_f32_e32 v40, v39, v38
	s_delay_alu instid0(VALU_DEP_3) | instskip(NEXT) | instid1(VALU_DEP_2)
	v_add_f32_e32 v34, v34, v36
	v_rcp_f32_e32 v36, v40
	s_delay_alu instid0(VALU_DEP_1) | instskip(SKIP_1) | instid1(VALU_DEP_1)
	v_add_f32_e32 v41, v37, v34
	v_sub_f32_e32 v39, v39, v40
	v_dual_sub_f32 v37, v37, v41 :: v_dual_add_f32 v38, v38, v39
	s_waitcnt_depctr 0xfff
	v_mul_f32_e32 v42, v41, v36
	s_delay_alu instid0(VALU_DEP_1) | instskip(NEXT) | instid1(VALU_DEP_1)
	v_dual_add_f32 v34, v34, v37 :: v_dual_mul_f32 v43, v40, v42
	v_fma_f32 v39, v42, v40, -v43
	s_delay_alu instid0(VALU_DEP_1) | instskip(NEXT) | instid1(VALU_DEP_1)
	v_fmac_f32_e32 v39, v42, v38
	v_add_f32_e32 v44, v43, v39
	s_delay_alu instid0(VALU_DEP_1) | instskip(SKIP_1) | instid1(VALU_DEP_2)
	v_sub_f32_e32 v45, v41, v44
	v_sub_f32_e32 v37, v44, v43
	;; [unrolled: 1-line block ×3, first 2 shown]
	s_delay_alu instid0(VALU_DEP_2) | instskip(NEXT) | instid1(VALU_DEP_2)
	v_sub_f32_e32 v37, v37, v39
	v_sub_f32_e32 v41, v41, v44
	s_delay_alu instid0(VALU_DEP_1) | instskip(NEXT) | instid1(VALU_DEP_1)
	v_add_f32_e32 v34, v34, v41
	v_add_f32_e32 v34, v37, v34
	s_delay_alu instid0(VALU_DEP_1) | instskip(NEXT) | instid1(VALU_DEP_1)
	v_add_f32_e32 v37, v45, v34
	v_mul_f32_e32 v39, v36, v37
	s_delay_alu instid0(VALU_DEP_1) | instskip(NEXT) | instid1(VALU_DEP_1)
	v_dual_sub_f32 v44, v45, v37 :: v_dual_mul_f32 v41, v40, v39
	v_add_f32_e32 v34, v34, v44
	s_delay_alu instid0(VALU_DEP_2) | instskip(NEXT) | instid1(VALU_DEP_1)
	v_fma_f32 v40, v39, v40, -v41
	v_fmac_f32_e32 v40, v39, v38
	s_delay_alu instid0(VALU_DEP_1) | instskip(NEXT) | instid1(VALU_DEP_1)
	v_add_f32_e32 v38, v41, v40
	v_sub_f32_e32 v43, v37, v38
	v_sub_f32_e32 v41, v38, v41
	s_delay_alu instid0(VALU_DEP_2) | instskip(NEXT) | instid1(VALU_DEP_1)
	v_sub_f32_e32 v37, v37, v43
	v_sub_f32_e32 v37, v37, v38
	s_delay_alu instid0(VALU_DEP_3) | instskip(NEXT) | instid1(VALU_DEP_2)
	v_sub_f32_e32 v38, v41, v40
	v_add_f32_e32 v34, v34, v37
	v_add_f32_e32 v37, v42, v39
	s_delay_alu instid0(VALU_DEP_2) | instskip(NEXT) | instid1(VALU_DEP_2)
	v_add_f32_e32 v34, v38, v34
	v_sub_f32_e32 v38, v37, v42
	s_delay_alu instid0(VALU_DEP_2) | instskip(NEXT) | instid1(VALU_DEP_2)
	v_add_f32_e32 v34, v43, v34
	v_sub_f32_e32 v38, v39, v38
	s_delay_alu instid0(VALU_DEP_2) | instskip(NEXT) | instid1(VALU_DEP_1)
	v_mul_f32_e32 v34, v36, v34
	v_add_f32_e32 v34, v38, v34
	s_delay_alu instid0(VALU_DEP_1) | instskip(NEXT) | instid1(VALU_DEP_1)
	v_add_f32_e32 v36, v37, v34
	v_mul_f32_e32 v38, v36, v36
	s_delay_alu instid0(VALU_DEP_1) | instskip(SKIP_1) | instid1(VALU_DEP_2)
	v_fmaak_f32 v39, s4, v38, 0x3ecc95a3
	v_mul_f32_e32 v40, v36, v38
	v_fmaak_f32 v38, v38, v39, 0x3f2aaada
	v_ldexp_f32 v39, v36, 1
	v_sub_f32_e32 v36, v36, v37
	s_delay_alu instid0(VALU_DEP_3) | instskip(SKIP_1) | instid1(VALU_DEP_2)
	v_mul_f32_e32 v38, v40, v38
	v_mul_f32_e32 v40, 0x3f317218, v33
	v_dual_sub_f32 v34, v34, v36 :: v_dual_add_f32 v37, v39, v38
	s_delay_alu instid0(VALU_DEP_1) | instskip(NEXT) | instid1(VALU_DEP_2)
	v_ldexp_f32 v34, v34, 1
	v_sub_f32_e32 v36, v37, v39
	s_delay_alu instid0(VALU_DEP_4) | instskip(NEXT) | instid1(VALU_DEP_1)
	v_fma_f32 v39, 0x3f317218, v33, -v40
	v_dual_sub_f32 v36, v38, v36 :: v_dual_fmac_f32 v39, 0xb102e308, v33
	s_delay_alu instid0(VALU_DEP_1) | instskip(NEXT) | instid1(VALU_DEP_1)
	v_dual_add_f32 v33, v34, v36 :: v_dual_add_f32 v34, v40, v39
	v_add_f32_e32 v36, v37, v33
	s_delay_alu instid0(VALU_DEP_2) | instskip(NEXT) | instid1(VALU_DEP_2)
	v_sub_f32_e32 v40, v34, v40
	v_dual_add_f32 v38, v34, v36 :: v_dual_sub_f32 v37, v36, v37
	s_delay_alu instid0(VALU_DEP_2) | instskip(NEXT) | instid1(VALU_DEP_2)
	v_sub_f32_e32 v39, v39, v40
	v_sub_f32_e32 v41, v38, v34
	s_delay_alu instid0(VALU_DEP_3) | instskip(NEXT) | instid1(VALU_DEP_2)
	v_sub_f32_e32 v33, v33, v37
	v_sub_f32_e32 v42, v38, v41
	;; [unrolled: 1-line block ×3, first 2 shown]
	s_delay_alu instid0(VALU_DEP_2) | instskip(NEXT) | instid1(VALU_DEP_1)
	v_dual_add_f32 v37, v39, v33 :: v_dual_sub_f32 v34, v34, v42
	v_add_f32_e32 v34, v36, v34
	s_delay_alu instid0(VALU_DEP_2) | instskip(NEXT) | instid1(VALU_DEP_2)
	v_sub_f32_e32 v36, v37, v39
	v_add_f32_e32 v34, v37, v34
	s_delay_alu instid0(VALU_DEP_2) | instskip(NEXT) | instid1(VALU_DEP_2)
	v_sub_f32_e32 v37, v37, v36
	v_dual_sub_f32 v33, v33, v36 :: v_dual_add_f32 v40, v38, v34
	s_delay_alu instid0(VALU_DEP_1) | instskip(NEXT) | instid1(VALU_DEP_1)
	v_dual_sub_f32 v37, v39, v37 :: v_dual_sub_f32 v36, v40, v38
	v_dual_add_f32 v33, v33, v37 :: v_dual_sub_f32 v34, v34, v36
	s_delay_alu instid0(VALU_DEP_1) | instskip(NEXT) | instid1(VALU_DEP_1)
	v_add_f32_e32 v33, v33, v34
	v_add_f32_e32 v33, v40, v33
	s_delay_alu instid0(VALU_DEP_1)
	v_cndmask_b32_e64 v33, v33, v35, s0
.LBB10_5:                               ;   in Loop: Header=BB10_3 Depth=1
	s_or_b32 exec_lo, exec_lo, s2
	s_delay_alu instid0(VALU_DEP_1) | instskip(SKIP_4) | instid1(VALU_DEP_3)
	v_mul_f32_e32 v47, v33, v2
	v_mul_f32_e32 v46, v33, v1
	;; [unrolled: 1-line block ×4, first 2 shown]
	s_add_u32 s12, s12, -1
	v_dual_mul_f32 v35, 0x3fb8aa3b, v47 :: v_dual_mul_f32 v34, 0x3fb8aa3b, v46
	v_mul_f32_e32 v67, v33, v4
	v_cmp_ngt_f32_e64 s2, 0xc2ce8ed0, v46
	v_cmp_nlt_f32_e64 s3, 0x42b17218, v46
	s_delay_alu instid0(VALU_DEP_4) | instskip(SKIP_4) | instid1(VALU_DEP_3)
	v_rndne_f32_e32 v39, v35
	v_rndne_f32_e32 v37, v34
	v_fma_f32 v36, 0x3fb8aa3b, v46, -v34
	v_mul_f32_e32 v42, v33, v5
	s_addc_u32 s13, s13, -1
	v_dual_mul_f32 v75, v33, v8 :: v_dual_sub_f32 v34, v34, v37
	v_fma_f32 v38, 0x3fb8aa3b, v47, -v35
	v_sub_f32_e32 v35, v35, v39
	v_mul_f32_e32 v43, v33, v6
	v_mul_f32_e32 v44, 0x3fb8aa3b, v42
	v_cvt_i32_f32_e32 v37, v37
	v_fmac_f32_e32 v38, 0x32a5705f, v47
	v_mul_f32_e32 v48, v33, v3
	v_cvt_i32_f32_e32 v39, v39
	v_mul_f32_e32 v41, 0x3fb8aa3b, v67
	v_fma_f32 v65, 0x3fb8aa3b, v42, -v44
	s_delay_alu instid0(VALU_DEP_4) | instskip(SKIP_1) | instid1(VALU_DEP_4)
	v_dual_add_f32 v35, v35, v38 :: v_dual_mul_f32 v40, 0x3fb8aa3b, v48
	v_cmp_ngt_f32_e64 s0, 0xc2ce8ed0, v42
	v_fma_f32 v63, 0x3fb8aa3b, v67, -v41
	v_fmac_f32_e32 v36, 0x32a5705f, v46
	v_rndne_f32_e32 v64, v41
	v_fma_f32 v38, 0x3fb8aa3b, v48, -v40
	v_rndne_f32_e32 v45, v40
	s_delay_alu instid0(VALU_DEP_4)
	v_dual_fmac_f32 v63, 0x32a5705f, v67 :: v_dual_add_f32 v34, v34, v36
	v_fmac_f32_e32 v65, 0x32a5705f, v42
	v_mul_f32_e32 v36, 0x3fb8aa3b, v43
	v_exp_f32_e32 v35, v35
	v_cmp_ngt_f32_e64 s1, 0xc2ce8ed0, v43
	v_exp_f32_e32 v34, v34
	s_cmp_eq_u64 s[12:13], 0
	v_mul_f32_e32 v79, v33, v9
	v_mul_f32_e32 v83, v33, v13
	v_mul_f32_e32 v93, v33, v16
	v_mul_f32_e32 v81, v33, v11
	v_mul_f32_e32 v89, v33, v15
	v_mul_f32_e32 v71, 0x3fb8aa3b, v79
	v_ldexp_f32 v69, v35, v39
	v_rndne_f32_e32 v35, v44
	v_ldexp_f32 v68, v34, v37
	v_dual_sub_f32 v34, v41, v64 :: v_dual_mul_f32 v41, 0x3fb8aa3b, v70
	v_fma_f32 v37, 0x3fb8aa3b, v43, -v36
	v_fmac_f32_e32 v38, 0x32a5705f, v48
	v_rndne_f32_e32 v39, v36
	s_delay_alu instid0(VALU_DEP_4) | instskip(SKIP_3) | instid1(VALU_DEP_3)
	v_add_f32_e32 v34, v34, v63
	v_fma_f32 v63, 0x3fb8aa3b, v70, -v41
	v_dual_sub_f32 v40, v40, v45 :: v_dual_fmac_f32 v37, 0x32a5705f, v43
	v_rndne_f32_e32 v73, v71
	v_dual_sub_f32 v36, v36, v39 :: v_dual_fmac_f32 v63, 0x32a5705f, v70
	s_delay_alu instid0(VALU_DEP_3) | instskip(SKIP_2) | instid1(VALU_DEP_4)
	v_add_f32_e32 v38, v40, v38
	v_fma_f32 v72, 0x3fb8aa3b, v79, -v71
	v_mul_f32_e32 v84, 0x3fb8aa3b, v83
	v_add_f32_e32 v36, v36, v37
	v_rndne_f32_e32 v37, v41
	v_sub_f32_e32 v40, v44, v35
	v_fmac_f32_e32 v72, 0x32a5705f, v79
	v_fma_f32 v86, 0x3fb8aa3b, v83, -v84
	v_rndne_f32_e32 v87, v84
	v_sub_f32_e32 v41, v41, v37
	v_add_f32_e32 v40, v40, v65
	v_cndmask_b32_e64 v68, 0, v68, s2
	v_mul_f32_e32 v94, 0x3fb8aa3b, v93
	v_sub_f32_e32 v84, v84, v87
	v_add_f32_e32 v41, v41, v63
	v_mul_f32_e32 v63, 0x3fb8aa3b, v80
	v_cndmask_b32_e64 v46, 0x7f800000, v68, s3
	v_exp_f32_e32 v38, v38
	v_exp_f32_e32 v36, v36
	;; [unrolled: 1-line block ×3, first 2 shown]
	v_rndne_f32_e32 v74, v63
	v_mul_f32_e32 v44, 0x3fb8aa3b, v75
	v_cvt_i32_f32_e32 v45, v45
	v_cvt_i32_f32_e32 v64, v64
	;; [unrolled: 1-line block ×4, first 2 shown]
	v_fma_f32 v65, 0x3fb8aa3b, v75, -v44
	v_rndne_f32_e32 v66, v44
	v_cvt_i32_f32_e32 v37, v37
	v_ldexp_f32 v95, v38, v45
	v_cmp_ngt_f32_e64 s2, 0xc2ce8ed0, v47
	s_delay_alu instid0(VALU_DEP_4)
	v_dual_fmac_f32 v65, 0x32a5705f, v75 :: v_dual_sub_f32 v44, v44, v66
	v_exp_f32_e32 v40, v40
	v_ldexp_f32 v97, v41, v37
	v_cvt_i32_f32_e32 v66, v66
	v_cndmask_b32_e64 v69, 0, v69, s2
	v_add_f32_e32 v44, v44, v65
	v_sub_f32_e32 v65, v71, v73
	v_fma_f32 v71, 0x3fb8aa3b, v80, -v63
	v_sub_f32_e32 v63, v63, v74
	v_cmp_nlt_f32_e64 s3, 0x42b17218, v47
	v_cvt_i32_f32_e32 v73, v73
	v_add_f32_e32 v65, v65, v72
	v_fmac_f32_e32 v71, 0x32a5705f, v80
	v_mul_f32_e32 v72, 0x3fb8aa3b, v81
	v_exp_f32_e32 v34, v34
	v_exp_f32_e32 v44, v44
	v_ldexp_f32 v45, v40, v35
	v_cndmask_b32_e64 v47, 0x7f800000, v69, s3
	v_cvt_i32_f32_e32 v74, v74
	v_fma_f32 v77, 0x3fb8aa3b, v81, -v72
	v_mul_f32_e32 v82, v33, v12
	v_rndne_f32_e32 v78, v72
	v_add_f32_e32 v63, v63, v71
	v_exp_f32_e32 v65, v65
	v_fmac_f32_e32 v77, 0x32a5705f, v81
	v_mul_f32_e32 v76, 0x3fb8aa3b, v82
	v_sub_f32_e32 v72, v72, v78
	v_ldexp_f32 v96, v34, v64
	v_ldexp_f32 v64, v36, v39
	;; [unrolled: 1-line block ×3, first 2 shown]
	v_exp_f32_e32 v63, v63
	v_add_f32_e32 v72, v72, v77
	v_mul_f32_e32 v77, 0x3fb8aa3b, v89
	v_fma_f32 v71, 0x3fb8aa3b, v82, -v76
	v_rndne_f32_e32 v85, v76
	v_ldexp_f32 v99, v65, v73
	v_cvt_i32_f32_e32 v44, v78
	v_fma_f32 v91, 0x3fb8aa3b, v89, -v77
	s_delay_alu instid0(VALU_DEP_4) | instskip(SKIP_2) | instid1(VALU_DEP_4)
	v_dual_fmac_f32 v71, 0x32a5705f, v82 :: v_dual_sub_f32 v76, v76, v85
	v_mul_f32_e32 v88, v33, v14
	v_rndne_f32_e32 v92, v77
	v_dual_fmac_f32 v86, 0x32a5705f, v83 :: v_dual_fmac_f32 v91, 0x32a5705f, v89
	s_delay_alu instid0(VALU_DEP_4) | instskip(SKIP_1) | instid1(VALU_DEP_4)
	v_add_f32_e32 v71, v76, v71
	v_ldexp_f32 v100, v63, v74
	v_sub_f32_e32 v77, v77, v92
	v_mul_f32_e32 v90, 0x3fb8aa3b, v88
	v_add_f32_e32 v76, v84, v86
	v_exp_f32_e32 v66, v71
	v_cvt_i32_f32_e32 v63, v85
	v_add_f32_e32 v77, v77, v91
	v_fma_f32 v84, 0x3fb8aa3b, v88, -v90
	v_rndne_f32_e32 v86, v90
	v_rndne_f32_e32 v91, v94
	v_exp_f32_e32 v71, v76
	v_cvt_i32_f32_e32 v76, v87
	v_fmac_f32_e32 v84, 0x32a5705f, v88
	v_sub_f32_e32 v90, v90, v86
	v_exp_f32_e32 v73, v77
	v_cvt_i32_f32_e32 v77, v86
	v_cmp_ngt_f32_e64 s2, 0xc2ce8ed0, v48
	v_ldexp_f32 v86, v66, v63
	v_add_f32_e32 v84, v90, v84
	v_fma_f32 v90, 0x3fb8aa3b, v93, -v94
	v_sub_f32_e32 v94, v94, v91
	v_ldexp_f32 v87, v71, v76
	v_cndmask_b32_e64 v76, 0, v45, s0
	v_cmp_nlt_f32_e64 s0, 0x42b17218, v42
	v_fmac_f32_e32 v90, 0x32a5705f, v93
	v_cndmask_b32_e64 v71, 0, v95, s2
	v_cmp_ngt_f32_e64 s2, 0xc2ce8ed0, v67
	v_cmp_nlt_f32_e64 s3, 0x42b17218, v48
	v_cvt_i32_f32_e32 v78, v92
	v_add_f32_e32 v90, v94, v90
	global_load_b32 v94, v[59:60], off
	ds_load_b128 v[34:37], v52
	ds_load_b128 v[38:41], v52 offset:16
	v_cndmask_b32_e64 v48, 0x7f800000, v71, s3
	v_cmp_nlt_f32_e64 s3, 0x42b17218, v67
	v_exp_f32_e32 v74, v90
	s_waitcnt vmcnt(0)
	v_mul_f32_e32 v94, v33, v94
	s_waitcnt lgkmcnt(1)
	s_delay_alu instid0(VALU_DEP_1)
	v_mul_f32_e32 v33, v94, v34
	v_mul_f32_e32 v34, v94, v35
	;; [unrolled: 1-line block ×4, first 2 shown]
	s_waitcnt lgkmcnt(0)
	v_mul_f32_e32 v37, v94, v38
	v_exp_f32_e32 v65, v72
	v_fmac_f32_e32 v34, v30, v47
	v_cndmask_b32_e64 v30, 0x7f800000, v76, s0
	v_fmac_f32_e32 v33, v29, v46
	v_cmp_ngt_f32_e64 s0, 0xc2ce8ed0, v75
	v_dual_fmac_f32 v35, v31, v48 :: v_dual_mul_f32 v38, v94, v39
	s_delay_alu instid0(VALU_DEP_4) | instskip(SKIP_2) | instid1(TRANS32_DEP_2)
	v_fmac_f32_e32 v37, v25, v30
	v_exp_f32_e32 v72, v84
	v_cvt_i32_f32_e32 v84, v91
	v_ldexp_f32 v85, v65, v44
	v_ldexp_f32 v91, v73, v78
	v_mul_f32_e32 v39, v94, v40
	s_delay_alu instid0(VALU_DEP_4)
	v_ldexp_f32 v84, v74, v84
	s_waitcnt_depctr 0xfff
	v_ldexp_f32 v90, v72, v77
	v_cndmask_b32_e64 v77, 0, v64, s1
	v_cmp_nlt_f32_e64 s1, 0x42b17218, v43
	ds_load_b128 v[42:45], v52 offset:64
	ds_load_b128 v[63:66], v52 offset:80
	v_cndmask_b32_e64 v72, 0, v96, s2
	v_cmp_ngt_f32_e64 s2, 0xc2ce8ed0, v70
	v_cndmask_b32_e64 v31, 0x7f800000, v77, s1
	v_cmp_ngt_f32_e64 s1, 0xc2ce8ed0, v79
	s_delay_alu instid0(VALU_DEP_4) | instskip(NEXT) | instid1(VALU_DEP_4)
	v_cndmask_b32_e64 v29, 0x7f800000, v72, s3
	v_cndmask_b32_e64 v92, 0, v97, s2
	v_cmp_nlt_f32_e64 s2, 0x42b17218, v70
	ds_load_b128 v[67:70], v52 offset:32
	ds_load_b128 v[71:74], v52 offset:48
	v_cndmask_b32_e64 v25, 0, v99, s1
	v_fmac_f32_e32 v36, v32, v29
	v_fmac_f32_e32 v38, v26, v31
	v_cndmask_b32_e64 v48, 0x7f800000, v92, s2
	v_cmp_ngt_f32_e64 s1, 0xc2ce8ed0, v80
	s_delay_alu instid0(VALU_DEP_2)
	v_fmac_f32_e32 v39, v27, v48
	s_waitcnt lgkmcnt(3)
	v_fma_f32 v95, v42, v33, 0
	v_cndmask_b32_e64 v42, 0, v98, s0
	v_cmp_nlt_f32_e64 s0, 0x42b17218, v75
	ds_load_b128 v[29:32], v52 offset:96
	ds_load_b128 v[75:78], v52 offset:112
	v_mul_f32_e32 v40, v94, v41
	v_cndmask_b32_e64 v26, 0, v100, s1
	v_cmp_ngt_f32_e64 s1, 0xc2ce8ed0, v81
	v_cndmask_b32_e64 v42, 0x7f800000, v42, s0
	v_cmp_nlt_f32_e64 s0, 0x42b17218, v79
	s_waitcnt lgkmcnt(3)
	v_mul_f32_e32 v41, v94, v67
	s_waitcnt lgkmcnt(2)
	v_mul_f32_e32 v48, v94, v74
	v_fmac_f32_e32 v40, v28, v42
	v_cndmask_b32_e64 v25, 0x7f800000, v25, s0
	v_cmp_nlt_f32_e64 s0, 0x42b17218, v80
	s_delay_alu instid0(VALU_DEP_2)
	v_dual_mul_f32 v42, v94, v68 :: v_dual_fmac_f32 v41, v21, v25
	v_fmac_f32_e32 v95, v43, v34
	v_cndmask_b32_e64 v43, 0, v85, s1
	v_cmp_ngt_f32_e64 s1, 0xc2ce8ed0, v82
	v_cndmask_b32_e64 v26, 0x7f800000, v26, s0
	v_cmp_nlt_f32_e64 s0, 0x42b17218, v81
	v_fmac_f32_e32 v95, v44, v35
	s_delay_alu instid0(VALU_DEP_4) | instskip(SKIP_1) | instid1(VALU_DEP_4)
	v_cndmask_b32_e64 v44, 0, v86, s1
	v_cmp_ngt_f32_e64 s1, 0xc2ce8ed0, v83
	v_cndmask_b32_e64 v21, 0x7f800000, v43, s0
	s_delay_alu instid0(VALU_DEP_4) | instskip(SKIP_3) | instid1(VALU_DEP_4)
	v_fmac_f32_e32 v95, v45, v36
	v_mul_f32_e32 v43, v94, v69
	v_cmp_nlt_f32_e64 s0, 0x42b17218, v82
	v_cndmask_b32_e64 v45, 0, v87, s1
	v_dual_fmac_f32 v42, v22, v26 :: v_dual_fmac_f32 v95, v63, v37
	s_delay_alu instid0(VALU_DEP_4) | instskip(NEXT) | instid1(VALU_DEP_4)
	v_fmac_f32_e32 v43, v23, v21
	v_cndmask_b32_e64 v22, 0x7f800000, v44, s0
	v_cmp_nlt_f32_e64 s0, 0x42b17218, v83
	v_cmp_ngt_f32_e64 s1, 0xc2ce8ed0, v88
	v_fmac_f32_e32 v95, v64, v38
	s_delay_alu instid0(VALU_DEP_3) | instskip(SKIP_1) | instid1(VALU_DEP_3)
	v_cndmask_b32_e64 v21, 0x7f800000, v45, s0
	v_mul_f32_e32 v45, v94, v71
	v_fmac_f32_e32 v95, v65, v39
	v_cndmask_b32_e64 v46, 0, v90, s1
	v_cmp_ngt_f32_e64 s1, 0xc2ce8ed0, v89
	v_cmp_nlt_f32_e64 s0, 0x42b17218, v88
	v_dual_fmac_f32 v45, v17, v21 :: v_dual_mul_f32 v44, v94, v70
	v_fmac_f32_e32 v95, v66, v40
	s_delay_alu instid0(VALU_DEP_4) | instskip(SKIP_2) | instid1(VALU_DEP_3)
	v_cndmask_b32_e64 v47, 0, v91, s1
	v_cmp_ngt_f32_e64 s1, 0xc2ce8ed0, v93
	s_waitcnt lgkmcnt(1)
	v_dual_fmac_f32 v44, v24, v22 :: v_dual_fmac_f32 v95, v29, v41
	v_cndmask_b32_e64 v22, 0x7f800000, v46, s0
	v_cmp_nlt_f32_e64 s0, 0x42b17218, v89
	v_cndmask_b32_e64 v63, 0, v84, s1
	s_delay_alu instid0(VALU_DEP_4) | instskip(NEXT) | instid1(VALU_DEP_3)
	v_fmac_f32_e32 v95, v30, v42
	v_cndmask_b32_e64 v17, 0x7f800000, v47, s0
	v_mul_f32_e32 v47, v94, v73
	s_delay_alu instid0(VALU_DEP_3) | instskip(SKIP_1) | instid1(VALU_DEP_2)
	v_dual_mul_f32 v46, v94, v72 :: v_dual_fmac_f32 v95, v31, v43
	v_cmp_nlt_f32_e64 s0, 0x42b17218, v93
	v_dual_fmac_f32 v47, v19, v17 :: v_dual_fmac_f32 v46, v18, v22
	s_delay_alu instid0(VALU_DEP_3) | instskip(NEXT) | instid1(VALU_DEP_3)
	v_fmac_f32_e32 v95, v32, v44
	v_cndmask_b32_e64 v18, 0x7f800000, v63, s0
	v_add_co_u32 v59, s0, v59, s8
	s_delay_alu instid0(VALU_DEP_1) | instskip(SKIP_1) | instid1(VALU_DEP_3)
	v_add_co_ci_u32_e64 v60, s0, s9, v60, s0
	s_waitcnt lgkmcnt(0)
	v_dual_fmac_f32 v95, v75, v45 :: v_dual_fmac_f32 v48, v20, v18
	v_add_co_u32 v57, s0, v57, s10
	s_delay_alu instid0(VALU_DEP_1) | instskip(NEXT) | instid1(VALU_DEP_3)
	v_add_co_ci_u32_e64 v58, s0, s11, v58, s0
	v_fmac_f32_e32 v95, v76, v46
	v_add_co_u32 v55, s0, v55, s16
	s_delay_alu instid0(VALU_DEP_1) | instskip(NEXT) | instid1(VALU_DEP_3)
	v_add_co_ci_u32_e64 v56, s0, s17, v56, s0
	v_fmac_f32_e32 v95, v77, v47
	s_delay_alu instid0(VALU_DEP_1) | instskip(SKIP_2) | instid1(VALU_DEP_1)
	v_fmac_f32_e32 v95, v78, v48
	global_store_b32 v[61:62], v95, off
	v_add_co_u32 v61, s0, v61, s6
	v_add_co_ci_u32_e64 v62, s0, s7, v62, s0
	v_add_co_u32 v53, s0, v53, s18
	s_delay_alu instid0(VALU_DEP_1)
	v_add_co_ci_u32_e64 v54, s0, s19, v54, s0
	s_waitcnt_vscnt null, 0x0
	s_barrier
	buffer_gl0_inv
	s_cbranch_scc1 .LBB10_8
; %bb.6:                                ;   in Loop: Header=BB10_3 Depth=1
	v_dual_mov_b32 v29, v33 :: v_dual_mov_b32 v30, v34
	v_dual_mov_b32 v31, v35 :: v_dual_mov_b32 v32, v36
	;; [unrolled: 1-line block ×8, first 2 shown]
	s_and_saveexec_b32 s0, vcc_lo
	s_cbranch_execnz .LBB10_2
	s_branch .LBB10_3
.LBB10_7:
	s_waitcnt vmcnt(0)
	v_dual_mov_b32 v48, v20 :: v_dual_mov_b32 v47, v19
	v_dual_mov_b32 v46, v18 :: v_dual_mov_b32 v45, v17
	v_dual_mov_b32 v44, v24 :: v_dual_mov_b32 v43, v23
	v_dual_mov_b32 v42, v22 :: v_dual_mov_b32 v41, v21
	v_dual_mov_b32 v40, v28 :: v_dual_mov_b32 v39, v27
	v_dual_mov_b32 v38, v26 :: v_dual_mov_b32 v37, v25
	v_dual_mov_b32 v36, v32 :: v_dual_mov_b32 v35, v31
	v_dual_mov_b32 v34, v30 :: v_dual_mov_b32 v33, v29
.LBB10_8:
	s_add_u32 s0, s30, s36
	s_mul_i32 s1, s14, s5
	s_addc_u32 s2, s31, s37
	s_add_u32 s0, s0, s1
	s_addc_u32 s1, s2, 0
	s_add_u32 s0, s0, s15
	s_addc_u32 s1, s1, s28
	v_add_co_u32 v0, vcc_lo, s0, v49
	v_add_co_ci_u32_e32 v1, vcc_lo, s1, v50, vcc_lo
	s_clause 0x3
	global_store_b128 v[0:1], v[33:36], off
	global_store_b128 v[0:1], v[37:40], off offset:16
	global_store_b128 v[0:1], v[41:44], off offset:32
	;; [unrolled: 1-line block ×3, first 2 shown]
	s_nop 0
	s_sendmsg sendmsg(MSG_DEALLOC_VGPRS)
	s_endpgm
	.section	.rodata,"a",@progbits
	.p2align	6, 0x0
	.amdhsa_kernel _Z12ssm_scan_f32ILm128ELm16ELm0EEvPKfS1_S1_S1_S1_S1_PKiPfiiiiiiiiiiilll
		.amdhsa_group_segment_fixed_size 128
		.amdhsa_private_segment_fixed_size 0
		.amdhsa_kernarg_size 136
		.amdhsa_user_sgpr_count 14
		.amdhsa_user_sgpr_dispatch_ptr 0
		.amdhsa_user_sgpr_queue_ptr 0
		.amdhsa_user_sgpr_kernarg_segment_ptr 1
		.amdhsa_user_sgpr_dispatch_id 0
		.amdhsa_user_sgpr_private_segment_size 0
		.amdhsa_wavefront_size32 1
		.amdhsa_uses_dynamic_stack 0
		.amdhsa_enable_private_segment 0
		.amdhsa_system_sgpr_workgroup_id_x 1
		.amdhsa_system_sgpr_workgroup_id_y 1
		.amdhsa_system_sgpr_workgroup_id_z 0
		.amdhsa_system_sgpr_workgroup_info 0
		.amdhsa_system_vgpr_workitem_id 0
		.amdhsa_next_free_vgpr 101
		.amdhsa_next_free_sgpr 44
		.amdhsa_reserve_vcc 1
		.amdhsa_float_round_mode_32 0
		.amdhsa_float_round_mode_16_64 0
		.amdhsa_float_denorm_mode_32 3
		.amdhsa_float_denorm_mode_16_64 3
		.amdhsa_dx10_clamp 1
		.amdhsa_ieee_mode 1
		.amdhsa_fp16_overflow 0
		.amdhsa_workgroup_processor_mode 1
		.amdhsa_memory_ordered 1
		.amdhsa_forward_progress 0
		.amdhsa_shared_vgpr_count 0
		.amdhsa_exception_fp_ieee_invalid_op 0
		.amdhsa_exception_fp_denorm_src 0
		.amdhsa_exception_fp_ieee_div_zero 0
		.amdhsa_exception_fp_ieee_overflow 0
		.amdhsa_exception_fp_ieee_underflow 0
		.amdhsa_exception_fp_ieee_inexact 0
		.amdhsa_exception_int_div_zero 0
	.end_amdhsa_kernel
	.section	.text._Z12ssm_scan_f32ILm128ELm16ELm0EEvPKfS1_S1_S1_S1_S1_PKiPfiiiiiiiiiiilll,"axG",@progbits,_Z12ssm_scan_f32ILm128ELm16ELm0EEvPKfS1_S1_S1_S1_S1_PKiPfiiiiiiiiiiilll,comdat
.Lfunc_end10:
	.size	_Z12ssm_scan_f32ILm128ELm16ELm0EEvPKfS1_S1_S1_S1_S1_PKiPfiiiiiiiiiiilll, .Lfunc_end10-_Z12ssm_scan_f32ILm128ELm16ELm0EEvPKfS1_S1_S1_S1_S1_PKiPfiiiiiiiiiiilll
                                        ; -- End function
	.section	.AMDGPU.csdata,"",@progbits
; Kernel info:
; codeLenInByte = 3968
; NumSgprs: 46
; NumVgprs: 101
; ScratchSize: 0
; MemoryBound: 0
; FloatMode: 240
; IeeeMode: 1
; LDSByteSize: 128 bytes/workgroup (compile time only)
; SGPRBlocks: 5
; VGPRBlocks: 12
; NumSGPRsForWavesPerEU: 46
; NumVGPRsForWavesPerEU: 101
; Occupancy: 12
; WaveLimiterHint : 1
; COMPUTE_PGM_RSRC2:SCRATCH_EN: 0
; COMPUTE_PGM_RSRC2:USER_SGPR: 14
; COMPUTE_PGM_RSRC2:TRAP_HANDLER: 0
; COMPUTE_PGM_RSRC2:TGID_X_EN: 1
; COMPUTE_PGM_RSRC2:TGID_Y_EN: 1
; COMPUTE_PGM_RSRC2:TGID_Z_EN: 0
; COMPUTE_PGM_RSRC2:TIDIG_COMP_CNT: 0
	.text
	.p2alignl 7, 3214868480
	.fill 96, 4, 3214868480
	.type	__hip_cuid_1ecbeadcfad68f98,@object ; @__hip_cuid_1ecbeadcfad68f98
	.section	.bss,"aw",@nobits
	.globl	__hip_cuid_1ecbeadcfad68f98
__hip_cuid_1ecbeadcfad68f98:
	.byte	0                               ; 0x0
	.size	__hip_cuid_1ecbeadcfad68f98, 1

	.ident	"AMD clang version 19.0.0git (https://github.com/RadeonOpenCompute/llvm-project roc-6.4.0 25133 c7fe45cf4b819c5991fe208aaa96edf142730f1d)"
	.section	".note.GNU-stack","",@progbits
	.addrsig
	.addrsig_sym __hip_cuid_1ecbeadcfad68f98
	.amdgpu_metadata
---
amdhsa.kernels:
  - .args:
      - .address_space:  global
        .offset:         0
        .size:           8
        .value_kind:     global_buffer
      - .address_space:  global
        .offset:         8
        .size:           8
        .value_kind:     global_buffer
      - .address_space:  global
        .offset:         16
        .size:           8
        .value_kind:     global_buffer
      - .address_space:  global
        .offset:         24
        .size:           8
        .value_kind:     global_buffer
      - .address_space:  global
        .offset:         32
        .size:           8
        .value_kind:     global_buffer
      - .address_space:  global
        .offset:         40
        .size:           8
        .value_kind:     global_buffer
      - .address_space:  global
        .offset:         48
        .size:           8
        .value_kind:     global_buffer
      - .address_space:  global
        .offset:         56
        .size:           8
        .value_kind:     global_buffer
      - .offset:         64
        .size:           4
        .value_kind:     by_value
      - .offset:         68
        .size:           4
        .value_kind:     by_value
      - .offset:         72
        .size:           4
        .value_kind:     by_value
      - .offset:         76
        .size:           4
        .value_kind:     by_value
      - .offset:         80
        .size:           4
        .value_kind:     by_value
      - .offset:         84
        .size:           4
        .value_kind:     by_value
      - .offset:         88
        .size:           4
        .value_kind:     by_value
      - .offset:         92
        .size:           4
        .value_kind:     by_value
      - .offset:         96
        .size:           4
        .value_kind:     by_value
      - .offset:         100
        .size:           4
        .value_kind:     by_value
      - .offset:         104
        .size:           4
        .value_kind:     by_value
      - .offset:         112
        .size:           8
        .value_kind:     by_value
      - .offset:         120
        .size:           8
        .value_kind:     by_value
      - .offset:         128
        .size:           8
        .value_kind:     by_value
      - .offset:         136
        .size:           8
        .value_kind:     by_value
      - .offset:         144
        .size:           8
        .value_kind:     by_value
    .group_segment_fixed_size: 0
    .kernarg_segment_align: 8
    .kernarg_segment_size: 152
    .language:       OpenCL C
    .language_version:
      - 2
      - 0
    .max_flat_workgroup_size: 128
    .name:           _Z18ssm_scan_f32_groupILi4ELi128EEvPKfS1_S1_S1_S1_S1_PKiPfiiiiiiiiiiilllll
    .private_segment_fixed_size: 0
    .sgpr_count:     51
    .sgpr_spill_count: 0
    .symbol:         _Z18ssm_scan_f32_groupILi4ELi128EEvPKfS1_S1_S1_S1_S1_PKiPfiiiiiiiiiiilllll.kd
    .uniform_work_group_size: 1
    .uses_dynamic_stack: false
    .vgpr_count:     42
    .vgpr_spill_count: 0
    .wavefront_size: 32
    .workgroup_processor_mode: 1
  - .args:
      - .address_space:  global
        .offset:         0
        .size:           8
        .value_kind:     global_buffer
      - .address_space:  global
        .offset:         8
        .size:           8
        .value_kind:     global_buffer
      - .address_space:  global
        .offset:         16
        .size:           8
        .value_kind:     global_buffer
      - .address_space:  global
        .offset:         24
        .size:           8
        .value_kind:     global_buffer
      - .address_space:  global
        .offset:         32
        .size:           8
        .value_kind:     global_buffer
      - .address_space:  global
        .offset:         40
        .size:           8
        .value_kind:     global_buffer
      - .address_space:  global
        .offset:         48
        .size:           8
        .value_kind:     global_buffer
      - .address_space:  global
        .offset:         56
        .size:           8
        .value_kind:     global_buffer
      - .offset:         64
        .size:           4
        .value_kind:     by_value
      - .offset:         68
        .size:           4
        .value_kind:     by_value
      - .offset:         72
        .size:           4
        .value_kind:     by_value
      - .offset:         76
        .size:           4
        .value_kind:     by_value
      - .offset:         80
        .size:           4
        .value_kind:     by_value
      - .offset:         84
        .size:           4
        .value_kind:     by_value
      - .offset:         88
        .size:           4
        .value_kind:     by_value
      - .offset:         92
        .size:           4
        .value_kind:     by_value
      - .offset:         96
        .size:           4
        .value_kind:     by_value
      - .offset:         100
        .size:           4
        .value_kind:     by_value
      - .offset:         104
        .size:           4
        .value_kind:     by_value
      - .offset:         112
        .size:           8
        .value_kind:     by_value
      - .offset:         120
        .size:           8
        .value_kind:     by_value
      - .offset:         128
        .size:           8
        .value_kind:     by_value
      - .offset:         136
        .size:           8
        .value_kind:     by_value
      - .offset:         144
        .size:           8
        .value_kind:     by_value
    .group_segment_fixed_size: 0
    .kernarg_segment_align: 8
    .kernarg_segment_size: 152
    .language:       OpenCL C
    .language_version:
      - 2
      - 0
    .max_flat_workgroup_size: 256
    .name:           _Z18ssm_scan_f32_groupILi8ELi256EEvPKfS1_S1_S1_S1_S1_PKiPfiiiiiiiiiiilllll
    .private_segment_fixed_size: 0
    .sgpr_count:     51
    .sgpr_spill_count: 0
    .symbol:         _Z18ssm_scan_f32_groupILi8ELi256EEvPKfS1_S1_S1_S1_S1_PKiPfiiiiiiiiiiilllll.kd
    .uniform_work_group_size: 1
    .uses_dynamic_stack: false
    .vgpr_count:     57
    .vgpr_spill_count: 0
    .wavefront_size: 32
    .workgroup_processor_mode: 1
  - .args:
      - .address_space:  global
        .offset:         0
        .size:           8
        .value_kind:     global_buffer
      - .address_space:  global
        .offset:         8
        .size:           8
        .value_kind:     global_buffer
      - .address_space:  global
        .offset:         16
        .size:           8
        .value_kind:     global_buffer
      - .address_space:  global
        .offset:         24
        .size:           8
        .value_kind:     global_buffer
      - .address_space:  global
        .offset:         32
        .size:           8
        .value_kind:     global_buffer
      - .address_space:  global
        .offset:         40
        .size:           8
        .value_kind:     global_buffer
      - .address_space:  global
        .offset:         48
        .size:           8
        .value_kind:     global_buffer
      - .address_space:  global
        .offset:         56
        .size:           8
        .value_kind:     global_buffer
      - .offset:         64
        .size:           4
        .value_kind:     by_value
      - .offset:         68
        .size:           4
        .value_kind:     by_value
      - .offset:         72
        .size:           4
        .value_kind:     by_value
      - .offset:         76
        .size:           4
        .value_kind:     by_value
      - .offset:         80
        .size:           4
        .value_kind:     by_value
      - .offset:         84
        .size:           4
        .value_kind:     by_value
      - .offset:         88
        .size:           4
        .value_kind:     by_value
      - .offset:         92
        .size:           4
        .value_kind:     by_value
      - .offset:         96
        .size:           4
        .value_kind:     by_value
      - .offset:         100
        .size:           4
        .value_kind:     by_value
      - .offset:         104
        .size:           4
        .value_kind:     by_value
      - .offset:         112
        .size:           8
        .value_kind:     by_value
      - .offset:         120
        .size:           8
        .value_kind:     by_value
      - .offset:         128
        .size:           8
        .value_kind:     by_value
    .group_segment_fixed_size: 128
    .kernarg_segment_align: 8
    .kernarg_segment_size: 136
    .language:       OpenCL C
    .language_version:
      - 2
      - 0
    .max_flat_workgroup_size: 128
    .name:           _Z12ssm_scan_f32ILm128ELm16ELm1EEvPKfS1_S1_S1_S1_S1_PKiPfiiiiiiiiiiilll
    .private_segment_fixed_size: 0
    .sgpr_count:     34
    .sgpr_spill_count: 0
    .symbol:         _Z12ssm_scan_f32ILm128ELm16ELm1EEvPKfS1_S1_S1_S1_S1_PKiPfiiiiiiiiiiilll.kd
    .uniform_work_group_size: 1
    .uses_dynamic_stack: false
    .vgpr_count:     97
    .vgpr_spill_count: 0
    .wavefront_size: 32
    .workgroup_processor_mode: 1
  - .args:
      - .address_space:  global
        .offset:         0
        .size:           8
        .value_kind:     global_buffer
      - .address_space:  global
        .offset:         8
        .size:           8
        .value_kind:     global_buffer
      - .address_space:  global
        .offset:         16
        .size:           8
        .value_kind:     global_buffer
      - .address_space:  global
        .offset:         24
        .size:           8
        .value_kind:     global_buffer
      - .address_space:  global
        .offset:         32
        .size:           8
        .value_kind:     global_buffer
      - .address_space:  global
        .offset:         40
        .size:           8
        .value_kind:     global_buffer
      - .address_space:  global
        .offset:         48
        .size:           8
        .value_kind:     global_buffer
      - .address_space:  global
        .offset:         56
        .size:           8
        .value_kind:     global_buffer
      - .offset:         64
        .size:           4
        .value_kind:     by_value
      - .offset:         68
        .size:           4
        .value_kind:     by_value
      - .offset:         72
        .size:           4
        .value_kind:     by_value
      - .offset:         76
        .size:           4
        .value_kind:     by_value
      - .offset:         80
        .size:           4
        .value_kind:     by_value
      - .offset:         84
        .size:           4
        .value_kind:     by_value
      - .offset:         88
        .size:           4
        .value_kind:     by_value
      - .offset:         92
        .size:           4
        .value_kind:     by_value
      - .offset:         96
        .size:           4
        .value_kind:     by_value
      - .offset:         100
        .size:           4
        .value_kind:     by_value
      - .offset:         104
        .size:           4
        .value_kind:     by_value
      - .offset:         112
        .size:           8
        .value_kind:     by_value
      - .offset:         120
        .size:           8
        .value_kind:     by_value
      - .offset:         128
        .size:           8
        .value_kind:     by_value
    .group_segment_fixed_size: 128
    .kernarg_segment_align: 8
    .kernarg_segment_size: 136
    .language:       OpenCL C
    .language_version:
      - 2
      - 0
    .max_flat_workgroup_size: 128
    .name:           _Z12ssm_scan_f32ILm128ELm16ELm2EEvPKfS1_S1_S1_S1_S1_PKiPfiiiiiiiiiiilll
    .private_segment_fixed_size: 0
    .sgpr_count:     42
    .sgpr_spill_count: 0
    .symbol:         _Z12ssm_scan_f32ILm128ELm16ELm2EEvPKfS1_S1_S1_S1_S1_PKiPfiiiiiiiiiiilll.kd
    .uniform_work_group_size: 1
    .uses_dynamic_stack: false
    .vgpr_count:     116
    .vgpr_spill_count: 0
    .wavefront_size: 32
    .workgroup_processor_mode: 1
  - .args:
      - .address_space:  global
        .offset:         0
        .size:           8
        .value_kind:     global_buffer
      - .address_space:  global
        .offset:         8
        .size:           8
        .value_kind:     global_buffer
      - .address_space:  global
        .offset:         16
        .size:           8
        .value_kind:     global_buffer
      - .address_space:  global
        .offset:         24
        .size:           8
        .value_kind:     global_buffer
      - .address_space:  global
        .offset:         32
        .size:           8
        .value_kind:     global_buffer
      - .address_space:  global
        .offset:         40
        .size:           8
        .value_kind:     global_buffer
      - .address_space:  global
        .offset:         48
        .size:           8
        .value_kind:     global_buffer
      - .address_space:  global
        .offset:         56
        .size:           8
        .value_kind:     global_buffer
      - .offset:         64
        .size:           4
        .value_kind:     by_value
      - .offset:         68
        .size:           4
        .value_kind:     by_value
      - .offset:         72
        .size:           4
        .value_kind:     by_value
      - .offset:         76
        .size:           4
        .value_kind:     by_value
      - .offset:         80
        .size:           4
        .value_kind:     by_value
      - .offset:         84
        .size:           4
        .value_kind:     by_value
      - .offset:         88
        .size:           4
        .value_kind:     by_value
      - .offset:         92
        .size:           4
        .value_kind:     by_value
      - .offset:         96
        .size:           4
        .value_kind:     by_value
      - .offset:         100
        .size:           4
        .value_kind:     by_value
      - .offset:         104
        .size:           4
        .value_kind:     by_value
      - .offset:         112
        .size:           8
        .value_kind:     by_value
      - .offset:         120
        .size:           8
        .value_kind:     by_value
      - .offset:         128
        .size:           8
        .value_kind:     by_value
    .group_segment_fixed_size: 128
    .kernarg_segment_align: 8
    .kernarg_segment_size: 136
    .language:       OpenCL C
    .language_version:
      - 2
      - 0
    .max_flat_workgroup_size: 128
    .name:           _Z12ssm_scan_f32ILm128ELm16ELm3EEvPKfS1_S1_S1_S1_S1_PKiPfiiiiiiiiiiilll
    .private_segment_fixed_size: 0
    .sgpr_count:     42
    .sgpr_spill_count: 0
    .symbol:         _Z12ssm_scan_f32ILm128ELm16ELm3EEvPKfS1_S1_S1_S1_S1_PKiPfiiiiiiiiiiilll.kd
    .uniform_work_group_size: 1
    .uses_dynamic_stack: false
    .vgpr_count:     144
    .vgpr_spill_count: 0
    .wavefront_size: 32
    .workgroup_processor_mode: 1
  - .args:
      - .address_space:  global
        .offset:         0
        .size:           8
        .value_kind:     global_buffer
      - .address_space:  global
        .offset:         8
        .size:           8
        .value_kind:     global_buffer
      - .address_space:  global
        .offset:         16
        .size:           8
        .value_kind:     global_buffer
      - .address_space:  global
        .offset:         24
        .size:           8
        .value_kind:     global_buffer
      - .address_space:  global
        .offset:         32
        .size:           8
        .value_kind:     global_buffer
      - .address_space:  global
        .offset:         40
        .size:           8
        .value_kind:     global_buffer
      - .address_space:  global
        .offset:         48
        .size:           8
        .value_kind:     global_buffer
      - .address_space:  global
        .offset:         56
        .size:           8
        .value_kind:     global_buffer
      - .offset:         64
        .size:           4
        .value_kind:     by_value
      - .offset:         68
        .size:           4
        .value_kind:     by_value
      - .offset:         72
        .size:           4
        .value_kind:     by_value
      - .offset:         76
        .size:           4
        .value_kind:     by_value
      - .offset:         80
        .size:           4
        .value_kind:     by_value
      - .offset:         84
        .size:           4
        .value_kind:     by_value
      - .offset:         88
        .size:           4
        .value_kind:     by_value
      - .offset:         92
        .size:           4
        .value_kind:     by_value
      - .offset:         96
        .size:           4
        .value_kind:     by_value
      - .offset:         100
        .size:           4
        .value_kind:     by_value
      - .offset:         104
        .size:           4
        .value_kind:     by_value
      - .offset:         112
        .size:           8
        .value_kind:     by_value
      - .offset:         120
        .size:           8
        .value_kind:     by_value
      - .offset:         128
        .size:           8
        .value_kind:     by_value
    .group_segment_fixed_size: 128
    .kernarg_segment_align: 8
    .kernarg_segment_size: 136
    .language:       OpenCL C
    .language_version:
      - 2
      - 0
    .max_flat_workgroup_size: 128
    .name:           _Z12ssm_scan_f32ILm128ELm16ELm4EEvPKfS1_S1_S1_S1_S1_PKiPfiiiiiiiiiiilll
    .private_segment_fixed_size: 0
    .sgpr_count:     64
    .sgpr_spill_count: 0
    .symbol:         _Z12ssm_scan_f32ILm128ELm16ELm4EEvPKfS1_S1_S1_S1_S1_PKiPfiiiiiiiiiiilll.kd
    .uniform_work_group_size: 1
    .uses_dynamic_stack: false
    .vgpr_count:     146
    .vgpr_spill_count: 0
    .wavefront_size: 32
    .workgroup_processor_mode: 1
  - .args:
      - .address_space:  global
        .offset:         0
        .size:           8
        .value_kind:     global_buffer
      - .address_space:  global
        .offset:         8
        .size:           8
        .value_kind:     global_buffer
      - .address_space:  global
        .offset:         16
        .size:           8
        .value_kind:     global_buffer
      - .address_space:  global
        .offset:         24
        .size:           8
        .value_kind:     global_buffer
      - .address_space:  global
        .offset:         32
        .size:           8
        .value_kind:     global_buffer
      - .address_space:  global
        .offset:         40
        .size:           8
        .value_kind:     global_buffer
      - .address_space:  global
        .offset:         48
        .size:           8
        .value_kind:     global_buffer
      - .address_space:  global
        .offset:         56
        .size:           8
        .value_kind:     global_buffer
      - .offset:         64
        .size:           4
        .value_kind:     by_value
      - .offset:         68
        .size:           4
        .value_kind:     by_value
      - .offset:         72
        .size:           4
        .value_kind:     by_value
      - .offset:         76
        .size:           4
        .value_kind:     by_value
      - .offset:         80
        .size:           4
        .value_kind:     by_value
      - .offset:         84
        .size:           4
        .value_kind:     by_value
      - .offset:         88
        .size:           4
        .value_kind:     by_value
      - .offset:         92
        .size:           4
        .value_kind:     by_value
      - .offset:         96
        .size:           4
        .value_kind:     by_value
      - .offset:         100
        .size:           4
        .value_kind:     by_value
      - .offset:         104
        .size:           4
        .value_kind:     by_value
      - .offset:         112
        .size:           8
        .value_kind:     by_value
      - .offset:         120
        .size:           8
        .value_kind:     by_value
      - .offset:         128
        .size:           8
        .value_kind:     by_value
    .group_segment_fixed_size: 128
    .kernarg_segment_align: 8
    .kernarg_segment_size: 136
    .language:       OpenCL C
    .language_version:
      - 2
      - 0
    .max_flat_workgroup_size: 128
    .name:           _Z12ssm_scan_f32ILm128ELm16ELm5EEvPKfS1_S1_S1_S1_S1_PKiPfiiiiiiiiiiilll
    .private_segment_fixed_size: 0
    .sgpr_count:     42
    .sgpr_spill_count: 0
    .symbol:         _Z12ssm_scan_f32ILm128ELm16ELm5EEvPKfS1_S1_S1_S1_S1_PKiPfiiiiiiiiiiilll.kd
    .uniform_work_group_size: 1
    .uses_dynamic_stack: false
    .vgpr_count:     144
    .vgpr_spill_count: 0
    .wavefront_size: 32
    .workgroup_processor_mode: 1
  - .args:
      - .address_space:  global
        .offset:         0
        .size:           8
        .value_kind:     global_buffer
      - .address_space:  global
        .offset:         8
        .size:           8
        .value_kind:     global_buffer
      - .address_space:  global
        .offset:         16
        .size:           8
        .value_kind:     global_buffer
      - .address_space:  global
        .offset:         24
        .size:           8
        .value_kind:     global_buffer
      - .address_space:  global
        .offset:         32
        .size:           8
        .value_kind:     global_buffer
      - .address_space:  global
        .offset:         40
        .size:           8
        .value_kind:     global_buffer
      - .address_space:  global
        .offset:         48
        .size:           8
        .value_kind:     global_buffer
      - .address_space:  global
        .offset:         56
        .size:           8
        .value_kind:     global_buffer
      - .offset:         64
        .size:           4
        .value_kind:     by_value
      - .offset:         68
        .size:           4
        .value_kind:     by_value
      - .offset:         72
        .size:           4
        .value_kind:     by_value
      - .offset:         76
        .size:           4
        .value_kind:     by_value
      - .offset:         80
        .size:           4
        .value_kind:     by_value
      - .offset:         84
        .size:           4
        .value_kind:     by_value
      - .offset:         88
        .size:           4
        .value_kind:     by_value
      - .offset:         92
        .size:           4
        .value_kind:     by_value
      - .offset:         96
        .size:           4
        .value_kind:     by_value
      - .offset:         100
        .size:           4
        .value_kind:     by_value
      - .offset:         104
        .size:           4
        .value_kind:     by_value
      - .offset:         112
        .size:           8
        .value_kind:     by_value
      - .offset:         120
        .size:           8
        .value_kind:     by_value
      - .offset:         128
        .size:           8
        .value_kind:     by_value
    .group_segment_fixed_size: 128
    .kernarg_segment_align: 8
    .kernarg_segment_size: 136
    .language:       OpenCL C
    .language_version:
      - 2
      - 0
    .max_flat_workgroup_size: 128
    .name:           _Z12ssm_scan_f32ILm128ELm16ELm6EEvPKfS1_S1_S1_S1_S1_PKiPfiiiiiiiiiiilll
    .private_segment_fixed_size: 0
    .sgpr_count:     42
    .sgpr_spill_count: 0
    .symbol:         _Z12ssm_scan_f32ILm128ELm16ELm6EEvPKfS1_S1_S1_S1_S1_PKiPfiiiiiiiiiiilll.kd
    .uniform_work_group_size: 1
    .uses_dynamic_stack: false
    .vgpr_count:     146
    .vgpr_spill_count: 0
    .wavefront_size: 32
    .workgroup_processor_mode: 1
  - .args:
      - .address_space:  global
        .offset:         0
        .size:           8
        .value_kind:     global_buffer
      - .address_space:  global
        .offset:         8
        .size:           8
        .value_kind:     global_buffer
      - .address_space:  global
        .offset:         16
        .size:           8
        .value_kind:     global_buffer
      - .address_space:  global
        .offset:         24
        .size:           8
        .value_kind:     global_buffer
      - .address_space:  global
        .offset:         32
        .size:           8
        .value_kind:     global_buffer
      - .address_space:  global
        .offset:         40
        .size:           8
        .value_kind:     global_buffer
      - .address_space:  global
        .offset:         48
        .size:           8
        .value_kind:     global_buffer
      - .address_space:  global
        .offset:         56
        .size:           8
        .value_kind:     global_buffer
      - .offset:         64
        .size:           4
        .value_kind:     by_value
      - .offset:         68
        .size:           4
        .value_kind:     by_value
      - .offset:         72
        .size:           4
        .value_kind:     by_value
      - .offset:         76
        .size:           4
        .value_kind:     by_value
      - .offset:         80
        .size:           4
        .value_kind:     by_value
      - .offset:         84
        .size:           4
        .value_kind:     by_value
      - .offset:         88
        .size:           4
        .value_kind:     by_value
      - .offset:         92
        .size:           4
        .value_kind:     by_value
      - .offset:         96
        .size:           4
        .value_kind:     by_value
      - .offset:         100
        .size:           4
        .value_kind:     by_value
      - .offset:         104
        .size:           4
        .value_kind:     by_value
      - .offset:         112
        .size:           8
        .value_kind:     by_value
      - .offset:         120
        .size:           8
        .value_kind:     by_value
      - .offset:         128
        .size:           8
        .value_kind:     by_value
    .group_segment_fixed_size: 128
    .kernarg_segment_align: 8
    .kernarg_segment_size: 136
    .language:       OpenCL C
    .language_version:
      - 2
      - 0
    .max_flat_workgroup_size: 128
    .name:           _Z12ssm_scan_f32ILm128ELm16ELm7EEvPKfS1_S1_S1_S1_S1_PKiPfiiiiiiiiiiilll
    .private_segment_fixed_size: 0
    .sgpr_count:     42
    .sgpr_spill_count: 0
    .symbol:         _Z12ssm_scan_f32ILm128ELm16ELm7EEvPKfS1_S1_S1_S1_S1_PKiPfiiiiiiiiiiilll.kd
    .uniform_work_group_size: 1
    .uses_dynamic_stack: false
    .vgpr_count:     146
    .vgpr_spill_count: 0
    .wavefront_size: 32
    .workgroup_processor_mode: 1
  - .args:
      - .address_space:  global
        .offset:         0
        .size:           8
        .value_kind:     global_buffer
      - .address_space:  global
        .offset:         8
        .size:           8
        .value_kind:     global_buffer
      - .address_space:  global
        .offset:         16
        .size:           8
        .value_kind:     global_buffer
      - .address_space:  global
        .offset:         24
        .size:           8
        .value_kind:     global_buffer
      - .address_space:  global
        .offset:         32
        .size:           8
        .value_kind:     global_buffer
      - .address_space:  global
        .offset:         40
        .size:           8
        .value_kind:     global_buffer
      - .address_space:  global
        .offset:         48
        .size:           8
        .value_kind:     global_buffer
      - .address_space:  global
        .offset:         56
        .size:           8
        .value_kind:     global_buffer
      - .offset:         64
        .size:           4
        .value_kind:     by_value
      - .offset:         68
        .size:           4
        .value_kind:     by_value
      - .offset:         72
        .size:           4
        .value_kind:     by_value
      - .offset:         76
        .size:           4
        .value_kind:     by_value
      - .offset:         80
        .size:           4
        .value_kind:     by_value
      - .offset:         84
        .size:           4
        .value_kind:     by_value
      - .offset:         88
        .size:           4
        .value_kind:     by_value
      - .offset:         92
        .size:           4
        .value_kind:     by_value
      - .offset:         96
        .size:           4
        .value_kind:     by_value
      - .offset:         100
        .size:           4
        .value_kind:     by_value
      - .offset:         104
        .size:           4
        .value_kind:     by_value
      - .offset:         112
        .size:           8
        .value_kind:     by_value
      - .offset:         120
        .size:           8
        .value_kind:     by_value
      - .offset:         128
        .size:           8
        .value_kind:     by_value
    .group_segment_fixed_size: 128
    .kernarg_segment_align: 8
    .kernarg_segment_size: 136
    .language:       OpenCL C
    .language_version:
      - 2
      - 0
    .max_flat_workgroup_size: 128
    .name:           _Z12ssm_scan_f32ILm128ELm16ELm8EEvPKfS1_S1_S1_S1_S1_PKiPfiiiiiiiiiiilll
    .private_segment_fixed_size: 0
    .sgpr_count:     42
    .sgpr_spill_count: 0
    .symbol:         _Z12ssm_scan_f32ILm128ELm16ELm8EEvPKfS1_S1_S1_S1_S1_PKiPfiiiiiiiiiiilll.kd
    .uniform_work_group_size: 1
    .uses_dynamic_stack: false
    .vgpr_count:     146
    .vgpr_spill_count: 0
    .wavefront_size: 32
    .workgroup_processor_mode: 1
  - .args:
      - .address_space:  global
        .offset:         0
        .size:           8
        .value_kind:     global_buffer
      - .address_space:  global
        .offset:         8
        .size:           8
        .value_kind:     global_buffer
      - .address_space:  global
        .offset:         16
        .size:           8
        .value_kind:     global_buffer
      - .address_space:  global
        .offset:         24
        .size:           8
        .value_kind:     global_buffer
      - .address_space:  global
        .offset:         32
        .size:           8
        .value_kind:     global_buffer
      - .address_space:  global
        .offset:         40
        .size:           8
        .value_kind:     global_buffer
      - .address_space:  global
        .offset:         48
        .size:           8
        .value_kind:     global_buffer
      - .address_space:  global
        .offset:         56
        .size:           8
        .value_kind:     global_buffer
      - .offset:         64
        .size:           4
        .value_kind:     by_value
      - .offset:         68
        .size:           4
        .value_kind:     by_value
      - .offset:         72
        .size:           4
        .value_kind:     by_value
      - .offset:         76
        .size:           4
        .value_kind:     by_value
      - .offset:         80
        .size:           4
        .value_kind:     by_value
      - .offset:         84
        .size:           4
        .value_kind:     by_value
      - .offset:         88
        .size:           4
        .value_kind:     by_value
      - .offset:         92
        .size:           4
        .value_kind:     by_value
      - .offset:         96
        .size:           4
        .value_kind:     by_value
      - .offset:         100
        .size:           4
        .value_kind:     by_value
      - .offset:         104
        .size:           4
        .value_kind:     by_value
      - .offset:         112
        .size:           8
        .value_kind:     by_value
      - .offset:         120
        .size:           8
        .value_kind:     by_value
      - .offset:         128
        .size:           8
        .value_kind:     by_value
    .group_segment_fixed_size: 128
    .kernarg_segment_align: 8
    .kernarg_segment_size: 136
    .language:       OpenCL C
    .language_version:
      - 2
      - 0
    .max_flat_workgroup_size: 128
    .name:           _Z12ssm_scan_f32ILm128ELm16ELm0EEvPKfS1_S1_S1_S1_S1_PKiPfiiiiiiiiiiilll
    .private_segment_fixed_size: 0
    .sgpr_count:     46
    .sgpr_spill_count: 0
    .symbol:         _Z12ssm_scan_f32ILm128ELm16ELm0EEvPKfS1_S1_S1_S1_S1_PKiPfiiiiiiiiiiilll.kd
    .uniform_work_group_size: 1
    .uses_dynamic_stack: false
    .vgpr_count:     101
    .vgpr_spill_count: 0
    .wavefront_size: 32
    .workgroup_processor_mode: 1
amdhsa.target:   amdgcn-amd-amdhsa--gfx1100
amdhsa.version:
  - 1
  - 2
...

	.end_amdgpu_metadata
